;; amdgpu-corpus repo=ROCm/rocFFT kind=compiled arch=gfx950 opt=O3
	.text
	.amdgcn_target "amdgcn-amd-amdhsa--gfx950"
	.amdhsa_code_object_version 6
	.protected	fft_rtc_back_len2560_factors_4_4_4_10_4_wgs_128_tpt_128_halfLds_half_op_CI_CI_unitstride_sbrr_dirReg ; -- Begin function fft_rtc_back_len2560_factors_4_4_4_10_4_wgs_128_tpt_128_halfLds_half_op_CI_CI_unitstride_sbrr_dirReg
	.globl	fft_rtc_back_len2560_factors_4_4_4_10_4_wgs_128_tpt_128_halfLds_half_op_CI_CI_unitstride_sbrr_dirReg
	.p2align	8
	.type	fft_rtc_back_len2560_factors_4_4_4_10_4_wgs_128_tpt_128_halfLds_half_op_CI_CI_unitstride_sbrr_dirReg,@function
fft_rtc_back_len2560_factors_4_4_4_10_4_wgs_128_tpt_128_halfLds_half_op_CI_CI_unitstride_sbrr_dirReg: ; @fft_rtc_back_len2560_factors_4_4_4_10_4_wgs_128_tpt_128_halfLds_half_op_CI_CI_unitstride_sbrr_dirReg
; %bb.0:
	s_load_dwordx4 s[4:7], s[0:1], 0x58
	s_load_dwordx4 s[8:11], s[0:1], 0x0
	;; [unrolled: 1-line block ×3, first 2 shown]
	v_mov_b32_e32 v6, s2
	v_mov_b32_e32 v4, 0
	v_mov_b32_e32 v7, v4
	s_waitcnt lgkmcnt(0)
	v_cmp_lt_u64_e64 s[2:3], s[10:11], 2
	s_and_b64 vcc, exec, s[2:3]
	v_mov_b64_e32 v[2:3], 0
	s_cbranch_vccnz .LBB0_8
; %bb.1:
	s_load_dwordx2 s[2:3], s[0:1], 0x10
	s_add_u32 s16, s14, 8
	s_addc_u32 s17, s15, 0
	s_add_u32 s18, s12, 8
	s_addc_u32 s19, s13, 0
	s_waitcnt lgkmcnt(0)
	s_add_u32 s20, s2, 8
	v_mov_b64_e32 v[2:3], 0
	s_addc_u32 s21, s3, 0
	s_mov_b64 s[22:23], 1
	v_mov_b64_e32 v[10:11], v[2:3]
.LBB0_2:                                ; =>This Inner Loop Header: Depth=1
	s_load_dwordx2 s[24:25], s[20:21], 0x0
                                        ; implicit-def: $vgpr12_vgpr13
	s_waitcnt lgkmcnt(0)
	v_or_b32_e32 v5, s25, v7
	v_cmp_ne_u64_e32 vcc, 0, v[4:5]
	s_and_saveexec_b64 s[2:3], vcc
	s_xor_b64 s[26:27], exec, s[2:3]
	s_cbranch_execz .LBB0_4
; %bb.3:                                ;   in Loop: Header=BB0_2 Depth=1
	v_cvt_f32_u32_e32 v1, s24
	v_cvt_f32_u32_e32 v5, s25
	s_sub_u32 s2, 0, s24
	s_subb_u32 s3, 0, s25
	v_fmac_f32_e32 v1, 0x4f800000, v5
	v_rcp_f32_e32 v1, v1
	s_nop 0
	v_mul_f32_e32 v1, 0x5f7ffffc, v1
	v_mul_f32_e32 v5, 0x2f800000, v1
	v_trunc_f32_e32 v5, v5
	v_fmac_f32_e32 v1, 0xcf800000, v5
	v_cvt_u32_f32_e32 v5, v5
	v_cvt_u32_f32_e32 v1, v1
	v_mul_lo_u32 v8, s2, v5
	v_mul_hi_u32 v12, s2, v1
	v_mul_lo_u32 v9, s3, v1
	v_add_u32_e32 v12, v12, v8
	v_mul_lo_u32 v14, s2, v1
	v_add_u32_e32 v15, v12, v9
	v_mul_hi_u32 v8, v1, v14
	v_mul_hi_u32 v13, v1, v15
	v_mul_lo_u32 v12, v1, v15
	v_mov_b32_e32 v9, v4
	v_lshl_add_u64 v[8:9], v[8:9], 0, v[12:13]
	v_mul_hi_u32 v13, v5, v14
	v_mul_lo_u32 v14, v5, v14
	v_add_co_u32_e32 v8, vcc, v8, v14
	v_mul_hi_u32 v12, v5, v15
	s_nop 0
	v_addc_co_u32_e32 v8, vcc, v9, v13, vcc
	v_mov_b32_e32 v9, v4
	s_nop 0
	v_addc_co_u32_e32 v13, vcc, 0, v12, vcc
	v_mul_lo_u32 v12, v5, v15
	v_lshl_add_u64 v[8:9], v[8:9], 0, v[12:13]
	v_add_co_u32_e32 v1, vcc, v1, v8
	v_mul_lo_u32 v12, s2, v1
	s_nop 0
	v_addc_co_u32_e32 v5, vcc, v5, v9, vcc
	v_mul_lo_u32 v8, s2, v5
	v_mul_hi_u32 v9, s2, v1
	v_add_u32_e32 v8, v9, v8
	v_mul_lo_u32 v9, s3, v1
	v_add_u32_e32 v14, v8, v9
	v_mul_hi_u32 v16, v5, v12
	v_mul_lo_u32 v17, v5, v12
	v_mul_hi_u32 v9, v1, v14
	v_mul_lo_u32 v8, v1, v14
	v_mul_hi_u32 v12, v1, v12
	v_mov_b32_e32 v13, v4
	v_lshl_add_u64 v[8:9], v[12:13], 0, v[8:9]
	v_add_co_u32_e32 v8, vcc, v8, v17
	v_mul_hi_u32 v15, v5, v14
	s_nop 0
	v_addc_co_u32_e32 v8, vcc, v9, v16, vcc
	v_mul_lo_u32 v12, v5, v14
	s_nop 0
	v_addc_co_u32_e32 v13, vcc, 0, v15, vcc
	v_mov_b32_e32 v9, v4
	v_lshl_add_u64 v[8:9], v[8:9], 0, v[12:13]
	v_add_co_u32_e32 v1, vcc, v1, v8
	v_mul_hi_u32 v12, v6, v1
	s_nop 0
	v_addc_co_u32_e32 v5, vcc, v5, v9, vcc
	v_mad_u64_u32 v[8:9], s[2:3], v6, v5, 0
	v_mov_b32_e32 v13, v4
	v_lshl_add_u64 v[8:9], v[12:13], 0, v[8:9]
	v_mad_u64_u32 v[14:15], s[2:3], v7, v1, 0
	v_add_co_u32_e32 v1, vcc, v8, v14
	v_mad_u64_u32 v[12:13], s[2:3], v7, v5, 0
	s_nop 0
	v_addc_co_u32_e32 v8, vcc, v9, v15, vcc
	v_mov_b32_e32 v9, v4
	s_nop 0
	v_addc_co_u32_e32 v13, vcc, 0, v13, vcc
	v_lshl_add_u64 v[8:9], v[8:9], 0, v[12:13]
	v_mul_lo_u32 v1, s25, v8
	v_mul_lo_u32 v5, s24, v9
	v_mad_u64_u32 v[12:13], s[2:3], s24, v8, 0
	v_add3_u32 v1, v13, v5, v1
	v_sub_u32_e32 v5, v7, v1
	v_mov_b32_e32 v13, s25
	v_sub_co_u32_e32 v16, vcc, v6, v12
	v_lshl_add_u64 v[14:15], v[8:9], 0, 1
	s_nop 0
	v_subb_co_u32_e64 v5, s[2:3], v5, v13, vcc
	v_subrev_co_u32_e64 v12, s[2:3], s24, v16
	v_subb_co_u32_e32 v1, vcc, v7, v1, vcc
	s_nop 0
	v_subbrev_co_u32_e64 v5, s[2:3], 0, v5, s[2:3]
	v_cmp_le_u32_e64 s[2:3], s25, v5
	v_cmp_le_u32_e32 vcc, s25, v1
	s_nop 0
	v_cndmask_b32_e64 v13, 0, -1, s[2:3]
	v_cmp_le_u32_e64 s[2:3], s24, v12
	s_nop 1
	v_cndmask_b32_e64 v12, 0, -1, s[2:3]
	v_cmp_eq_u32_e64 s[2:3], s25, v5
	s_nop 1
	v_cndmask_b32_e64 v5, v13, v12, s[2:3]
	v_lshl_add_u64 v[12:13], v[8:9], 0, 2
	v_cmp_ne_u32_e64 s[2:3], 0, v5
	s_nop 1
	v_cndmask_b32_e64 v5, v15, v13, s[2:3]
	v_cndmask_b32_e64 v13, 0, -1, vcc
	v_cmp_le_u32_e32 vcc, s24, v16
	s_nop 1
	v_cndmask_b32_e64 v15, 0, -1, vcc
	v_cmp_eq_u32_e32 vcc, s25, v1
	s_nop 1
	v_cndmask_b32_e32 v1, v13, v15, vcc
	v_cmp_ne_u32_e32 vcc, 0, v1
	v_cndmask_b32_e64 v1, v14, v12, s[2:3]
	s_nop 0
	v_cndmask_b32_e32 v13, v9, v5, vcc
	v_cndmask_b32_e32 v12, v8, v1, vcc
.LBB0_4:                                ;   in Loop: Header=BB0_2 Depth=1
	s_andn2_saveexec_b64 s[2:3], s[26:27]
	s_cbranch_execz .LBB0_6
; %bb.5:                                ;   in Loop: Header=BB0_2 Depth=1
	v_cvt_f32_u32_e32 v1, s24
	s_sub_i32 s26, 0, s24
	v_mov_b32_e32 v13, v4
	v_rcp_iflag_f32_e32 v1, v1
	s_nop 0
	v_mul_f32_e32 v1, 0x4f7ffffe, v1
	v_cvt_u32_f32_e32 v1, v1
	v_mul_lo_u32 v5, s26, v1
	v_mul_hi_u32 v5, v1, v5
	v_add_u32_e32 v1, v1, v5
	v_mul_hi_u32 v1, v6, v1
	v_mul_lo_u32 v5, v1, s24
	v_sub_u32_e32 v5, v6, v5
	v_add_u32_e32 v8, 1, v1
	v_subrev_u32_e32 v9, s24, v5
	v_cmp_le_u32_e32 vcc, s24, v5
	s_nop 1
	v_cndmask_b32_e32 v5, v5, v9, vcc
	v_cndmask_b32_e32 v1, v1, v8, vcc
	v_add_u32_e32 v8, 1, v1
	v_cmp_le_u32_e32 vcc, s24, v5
	s_nop 1
	v_cndmask_b32_e32 v12, v1, v8, vcc
.LBB0_6:                                ;   in Loop: Header=BB0_2 Depth=1
	s_or_b64 exec, exec, s[2:3]
	v_mad_u64_u32 v[8:9], s[2:3], v12, s24, 0
	s_load_dwordx2 s[2:3], s[18:19], 0x0
	v_mul_lo_u32 v1, v13, s24
	v_mul_lo_u32 v5, v12, s25
	s_load_dwordx2 s[24:25], s[16:17], 0x0
	s_add_u32 s22, s22, 1
	v_add3_u32 v1, v9, v5, v1
	v_sub_co_u32_e32 v5, vcc, v6, v8
	s_addc_u32 s23, s23, 0
	s_nop 0
	v_subb_co_u32_e32 v1, vcc, v7, v1, vcc
	s_add_u32 s16, s16, 8
	s_waitcnt lgkmcnt(0)
	v_mul_lo_u32 v6, s2, v1
	v_mul_lo_u32 v7, s3, v5
	v_mad_u64_u32 v[2:3], s[2:3], s2, v5, v[2:3]
	s_addc_u32 s17, s17, 0
	v_add3_u32 v3, v7, v3, v6
	v_mul_lo_u32 v1, s24, v1
	v_mul_lo_u32 v6, s25, v5
	v_mad_u64_u32 v[10:11], s[2:3], s24, v5, v[10:11]
	s_add_u32 s18, s18, 8
	v_add3_u32 v11, v6, v11, v1
	s_addc_u32 s19, s19, 0
	v_mov_b64_e32 v[6:7], s[10:11]
	s_add_u32 s20, s20, 8
	v_cmp_ge_u64_e32 vcc, s[22:23], v[6:7]
	s_addc_u32 s21, s21, 0
	s_cbranch_vccnz .LBB0_9
; %bb.7:                                ;   in Loop: Header=BB0_2 Depth=1
	v_mov_b64_e32 v[6:7], v[12:13]
	s_branch .LBB0_2
.LBB0_8:
	v_mov_b64_e32 v[10:11], v[2:3]
	v_mov_b64_e32 v[12:13], v[6:7]
.LBB0_9:
	s_load_dwordx2 s[0:1], s[0:1], 0x28
	s_lshl_b64 s[10:11], s[10:11], 3
	s_add_u32 s2, s14, s10
	s_addc_u32 s3, s15, s11
                                        ; implicit-def: $sgpr14
                                        ; implicit-def: $vgpr1
                                        ; implicit-def: $vgpr14
                                        ; implicit-def: $vgpr15
                                        ; implicit-def: $vgpr16
	s_waitcnt lgkmcnt(0)
	v_cmp_gt_u64_e32 vcc, s[0:1], v[12:13]
	v_cmp_le_u64_e64 s[0:1], s[0:1], v[12:13]
	s_and_saveexec_b64 s[16:17], s[0:1]
	s_xor_b64 s[0:1], exec, s[16:17]
; %bb.10:
	v_or_b32_e32 v1, 0x80, v0
	v_or_b32_e32 v14, 0x100, v0
	;; [unrolled: 1-line block ×4, first 2 shown]
	s_mov_b32 s14, 0
                                        ; implicit-def: $vgpr2_vgpr3
; %bb.11:
	s_or_saveexec_b64 s[0:1], s[0:1]
	v_mov_b32_e32 v17, s14
	v_mov_b32_e32 v40, s14
	;; [unrolled: 1-line block ×10, first 2 shown]
                                        ; implicit-def: $vgpr39
                                        ; implicit-def: $vgpr4
                                        ; implicit-def: $vgpr38
                                        ; implicit-def: $vgpr26
                                        ; implicit-def: $vgpr37
                                        ; implicit-def: $vgpr23
                                        ; implicit-def: $vgpr36
                                        ; implicit-def: $vgpr20
                                        ; implicit-def: $vgpr35
                                        ; implicit-def: $vgpr19
                                        ; implicit-def: $vgpr34
                                        ; implicit-def: $vgpr18
                                        ; implicit-def: $vgpr33
                                        ; implicit-def: $vgpr7
                                        ; implicit-def: $vgpr32
                                        ; implicit-def: $vgpr28
                                        ; implicit-def: $vgpr31
                                        ; implicit-def: $vgpr25
                                        ; implicit-def: $vgpr30
                                        ; implicit-def: $vgpr24
	s_xor_b64 exec, exec, s[0:1]
	s_cbranch_execz .LBB0_13
; %bb.12:
	s_add_u32 s10, s12, s10
	s_addc_u32 s11, s13, s11
	s_load_dwordx2 s[10:11], s[10:11], 0x0
	v_lshlrev_b32_e32 v14, 2, v0
	v_mov_b32_e32 v15, 0
	v_or_b32_e32 v18, 0x1000, v14
	v_mov_b32_e32 v19, v15
	s_waitcnt lgkmcnt(0)
	v_mul_lo_u32 v1, s11, v12
	v_mul_lo_u32 v6, s10, v13
	v_mad_u64_u32 v[4:5], s[10:11], s10, v12, 0
	v_add3_u32 v5, v5, v6, v1
	v_lshl_add_u64 v[4:5], v[4:5], 2, s[4:5]
	v_lshl_add_u64 v[2:3], v[2:3], 2, v[4:5]
	v_or_b32_e32 v4, 0x1400, v14
	v_mov_b32_e32 v5, v15
	v_lshl_add_u64 v[6:7], v[2:3], 0, v[4:5]
	v_or_b32_e32 v4, 0x1e00, v14
	v_lshl_add_u64 v[30:31], v[2:3], 0, v[14:15]
	v_lshl_add_u64 v[24:25], v[2:3], 0, v[4:5]
	global_load_dword v4, v[6:7], off
	global_load_dword v5, v[30:31], off offset:3072
	v_or_b32_e32 v6, 0x1600, v14
	v_mov_b32_e32 v7, v15
	v_lshl_add_u64 v[28:29], v[2:3], 0, v[6:7]
	v_or_b32_e32 v6, 0x2000, v14
	v_lshl_add_u64 v[32:33], v[2:3], 0, v[6:7]
	v_or_b32_e32 v6, 0xe00, v14
	;; [unrolled: 2-line block ×5, first 2 shown]
	v_lshl_add_u64 v[38:39], v[2:3], 0, v[6:7]
	global_load_dword v17, v[30:31], off
	global_load_dword v21, v[30:31], off offset:512
	global_load_dword v8, v[30:31], off offset:1024
	;; [unrolled: 1-line block ×3, first 2 shown]
	v_lshl_add_u64 v[42:43], v[2:3], 0, v[18:19]
	global_load_dword v26, v[24:25], off
	global_load_dword v23, v[28:29], off
	;; [unrolled: 1-line block ×8, first 2 shown]
	v_or_b32_e32 v24, 0x2400, v14
	v_mov_b32_e32 v25, v15
	v_lshl_add_u64 v[32:33], v[2:3], 0, v[24:25]
	v_or_b32_e32 v24, 0x1200, v14
	v_lshl_add_u64 v[34:35], v[2:3], 0, v[24:25]
	v_or_b32_e32 v24, 0x1c00, v14
	v_or_b32_e32 v14, 0x2600, v14
	v_lshl_add_u64 v[36:37], v[2:3], 0, v[24:25]
	v_lshl_add_u64 v[2:3], v[2:3], 0, v[14:15]
	global_load_dword v28, v[32:33], off
	global_load_dword v27, v[34:35], off
	;; [unrolled: 1-line block ×4, first 2 shown]
	global_load_dword v40, v[30:31], off offset:2560
	global_load_dword v29, v[30:31], off offset:2048
	v_or_b32_e32 v1, 0x80, v0
	v_or_b32_e32 v14, 0x100, v0
	;; [unrolled: 1-line block ×4, first 2 shown]
	s_waitcnt vmcnt(19)
	v_lshrrev_b32_e32 v39, 16, v4
	s_waitcnt vmcnt(13)
	v_lshrrev_b32_e32 v38, 16, v26
	;; [unrolled: 2-line block ×10, first 2 shown]
.LBB0_13:
	s_or_b64 exec, exec, s[0:1]
	v_lshrrev_b32_e32 v42, 16, v5
	v_lshrrev_b32_e32 v41, 16, v21
	v_sub_f16_e32 v23, v21, v23
	v_sub_f16_e32 v36, v42, v36
	;; [unrolled: 1-line block ×4, first 2 shown]
	v_fma_f16 v42, v42, 2.0, -v36
	v_add_f16_e32 v36, v23, v36
	v_fma_f16 v21, v21, 2.0, -v23
	v_fma_f16 v5, v5, 2.0, -v20
	v_sub_f16_e32 v43, v37, v20
	v_fma_f16 v20, v23, 2.0, -v36
	v_lshrrev_b32_e32 v23, 16, v8
	v_lshrrev_b32_e32 v44, 16, v22
	v_sub_f16_e32 v35, v23, v35
	v_sub_f16_e32 v34, v44, v34
	v_fma_f16 v23, v23, 2.0, -v35
	v_fma_f16 v44, v44, 2.0, -v34
	v_sub_f16_e32 v19, v8, v19
	v_sub_f16_e32 v18, v22, v18
	;; [unrolled: 1-line block ×3, first 2 shown]
	v_fma_f16 v22, v22, 2.0, -v18
	v_fma_f16 v45, v23, 2.0, -v44
	v_add_f16_e32 v23, v19, v34
	v_sub_f16_e32 v34, v35, v18
	v_lshrrev_b32_e32 v18, 16, v6
	v_fma_f16 v8, v8, 2.0, -v19
	v_fma_f16 v46, v19, 2.0, -v23
	v_sub_f16_e32 v19, v18, v33
	v_lshrrev_b32_e32 v33, 16, v9
	v_sub_f16_e32 v32, v33, v32
	v_fma_f16 v18, v18, 2.0, -v19
	v_fma_f16 v33, v33, 2.0, -v32
	v_sub_f16_e32 v28, v9, v28
	v_sub_f16_e32 v33, v18, v33
	v_lshrrev_b32_e32 v2, 16, v17
	v_fma_f16 v9, v9, 2.0, -v28
	v_fma_f16 v47, v18, 2.0, -v33
	v_sub_f16_e32 v28, v19, v28
	s_waitcnt vmcnt(0)
	v_lshrrev_b32_e32 v18, 16, v29
	v_sub_f16_e32 v3, v17, v4
	v_sub_f16_e32 v4, v2, v39
	v_lshrrev_b32_e32 v39, 16, v40
	v_sub_f16_e32 v26, v40, v26
	v_fma_f16 v48, v19, 2.0, -v28
	v_sub_f16_e32 v19, v29, v25
	v_sub_f16_e32 v25, v18, v31
	v_lshrrev_b32_e32 v31, 16, v27
	v_fma_f16 v17, v17, 2.0, -v3
	v_sub_f16_e32 v38, v39, v38
	v_fma_f16 v40, v40, 2.0, -v26
	v_sub_f16_e32 v30, v31, v30
	;; [unrolled: 2-line block ×3, first 2 shown]
	v_add_f16_e32 v38, v3, v38
	v_fma_f16 v18, v18, 2.0, -v25
	v_fma_f16 v31, v31, 2.0, -v30
	;; [unrolled: 1-line block ×4, first 2 shown]
	v_sub_f16_e32 v5, v21, v5
	v_sub_f16_e32 v7, v6, v7
	;; [unrolled: 1-line block ×3, first 2 shown]
	v_fma_f16 v21, v21, 2.0, -v5
	v_sub_f16_e32 v22, v8, v22
	v_fma_f16 v6, v6, 2.0, -v7
	v_sub_f16_e32 v24, v27, v24
	v_fma_f16 v49, v18, 2.0, -v31
	v_lshl_add_u32 v52, v0, 3, 0
	v_pack_b32_f16 v18, v40, v38
	v_pack_b32_f16 v3, v17, v3
	v_fma_f16 v8, v8, 2.0, -v22
	v_sub_f16_e32 v9, v6, v9
	v_add_f16_e32 v32, v7, v32
	v_fma_f16 v29, v29, 2.0, -v19
	v_fma_f16 v27, v27, 2.0, -v24
	v_add_f16_e32 v30, v19, v30
	ds_write2_b32 v52, v3, v18 offset1:1
	v_lshl_add_u32 v18, v1, 3, 0
	v_pack_b32_f16 v3, v5, v36
	v_pack_b32_f16 v5, v21, v20
	v_fma_f16 v2, v2, 2.0, -v4
	v_fma_f16 v6, v6, 2.0, -v9
	;; [unrolled: 1-line block ×3, first 2 shown]
	v_sub_f16_e32 v27, v29, v27
	v_sub_f16_e32 v50, v25, v24
	v_fma_f16 v24, v19, 2.0, -v30
	ds_write2_b32 v18, v5, v3 offset1:1
	v_lshl_add_u32 v19, v14, 3, 0
	v_pack_b32_f16 v3, v22, v23
	v_pack_b32_f16 v5, v8, v46
	v_sub_f16_e32 v39, v2, v39
	v_sub_f16_e32 v26, v4, v26
	v_fma_f16 v41, v41, 2.0, -v37
	v_fma_f16 v29, v29, 2.0, -v27
	ds_write2_b32 v19, v5, v3 offset1:1
	v_lshl_add_u32 v20, v15, 3, 0
	v_pack_b32_f16 v3, v9, v32
	v_pack_b32_f16 v5, v6, v7
	v_fma_f16 v2, v2, 2.0, -v39
	v_fma_f16 v4, v4, 2.0, -v26
	v_sub_f16_e32 v42, v41, v42
	ds_write2_b32 v20, v5, v3 offset1:1
	v_lshl_add_u32 v21, v16, 3, 0
	v_pack_b32_f16 v3, v27, v30
	v_pack_b32_f16 v5, v29, v24
	v_fma_f16 v41, v41, 2.0, -v42
	v_fma_f16 v37, v37, 2.0, -v43
	ds_write2_b32 v21, v5, v3 offset1:1
	v_mad_i32_i24 v17, v0, -6, v52
	v_mad_i32_i24 v22, v1, -6, v18
	v_pack_b32_f16 v3, v39, v26
	v_pack_b32_f16 v2, v2, v4
	s_load_dwordx2 s[0:1], s[2:3], 0x0
	v_fma_f16 v35, v35, 2.0, -v34
	v_fma_f16 v51, v25, 2.0, -v50
	s_waitcnt lgkmcnt(0)
	s_barrier
	v_mad_i32_i24 v23, v14, -6, v19
	v_mad_i32_i24 v24, v15, -6, v20
	ds_read_u16 v5, v17
	ds_read_u16 v6, v17 offset:1280
	ds_read_u16 v7, v17 offset:1536
	;; [unrolled: 1-line block ×6, first 2 shown]
	v_mad_i32_i24 v25, v16, -6, v21
	ds_read_u16 v30, v22
	ds_read_u16 v32, v23
	;; [unrolled: 1-line block ×4, first 2 shown]
	ds_read_u16 v40, v17 offset:2816
	ds_read_u16 v46, v17 offset:2560
	;; [unrolled: 1-line block ×9, first 2 shown]
	s_waitcnt lgkmcnt(0)
	s_barrier
	ds_write2_b32 v52, v2, v3 offset1:1
	v_pack_b32_f16 v2, v42, v43
	v_pack_b32_f16 v3, v41, v37
	ds_write2_b32 v18, v3, v2 offset1:1
	v_pack_b32_f16 v2, v44, v34
	v_pack_b32_f16 v3, v45, v35
	;; [unrolled: 3-line block ×4, first 2 shown]
	v_and_b32_e32 v28, 3, v0
	ds_write2_b32 v21, v3, v2 offset1:1
	v_mul_u32_u24_e32 v2, 3, v28
	v_lshlrev_b32_e32 v2, 2, v2
	s_waitcnt lgkmcnt(0)
	s_barrier
	global_load_dwordx3 v[2:4], v2, s[8:9]
	ds_read_u16 v31, v17 offset:1280
	ds_read_u16 v33, v17 offset:1536
	;; [unrolled: 1-line block ×15, first 2 shown]
	ds_read_u16 v52, v17
	s_movk_i32 s2, 0x1f0
	s_mov_b32 s10, 0xbb9c
	s_movk_i32 s3, 0x3b9c
	s_mov_b32 s5, 0xb8b4
	;; [unrolled: 2-line block ×3, first 2 shown]
	s_mov_b32 s11, 0xba79
	s_movk_i32 s13, 0x3a79
	s_waitcnt vmcnt(0) lgkmcnt(14)
	v_mul_f16_sdwa v58, v31, v2 dst_sel:DWORD dst_unused:UNUSED_PAD src0_sel:DWORD src1_sel:WORD_1
	v_fma_f16 v58, v6, v2, v58
	v_mul_f16_sdwa v6, v6, v2 dst_sel:DWORD dst_unused:UNUSED_PAD src0_sel:DWORD src1_sel:WORD_1
	v_fma_f16 v6, v31, v2, -v6
	s_waitcnt lgkmcnt(8)
	v_mul_f16_sdwa v31, v43, v3 dst_sel:DWORD dst_unused:UNUSED_PAD src0_sel:DWORD src1_sel:WORD_1
	v_fma_f16 v31, v46, v3, v31
	v_mul_f16_sdwa v46, v46, v3 dst_sel:DWORD dst_unused:UNUSED_PAD src0_sel:DWORD src1_sel:WORD_1
	v_fma_f16 v43, v43, v3, -v46
	s_waitcnt lgkmcnt(2)
	v_mul_f16_sdwa v46, v50, v4 dst_sel:DWORD dst_unused:UNUSED_PAD src0_sel:DWORD src1_sel:WORD_1
	v_fma_f16 v46, v39, v4, v46
	v_mul_f16_sdwa v39, v39, v4 dst_sel:DWORD dst_unused:UNUSED_PAD src0_sel:DWORD src1_sel:WORD_1
	v_fma_f16 v39, v50, v4, -v39
	v_mul_f16_sdwa v50, v33, v2 dst_sel:DWORD dst_unused:UNUSED_PAD src0_sel:DWORD src1_sel:WORD_1
	v_fma_f16 v50, v7, v2, v50
	v_mul_f16_sdwa v7, v7, v2 dst_sel:DWORD dst_unused:UNUSED_PAD src0_sel:DWORD src1_sel:WORD_1
	v_fma_f16 v7, v33, v2, -v7
	;; [unrolled: 4-line block ×11, first 2 shown]
	s_waitcnt lgkmcnt(1)
	v_mul_f16_sdwa v2, v51, v3 dst_sel:DWORD dst_unused:UNUSED_PAD src0_sel:DWORD src1_sel:WORD_1
	v_fma_f16 v53, v57, v3, v2
	v_mul_f16_sdwa v2, v57, v3 dst_sel:DWORD dst_unused:UNUSED_PAD src0_sel:DWORD src1_sel:WORD_1
	v_fma_f16 v3, v51, v3, -v2
	v_mul_f16_sdwa v2, v48, v4 dst_sel:DWORD dst_unused:UNUSED_PAD src0_sel:DWORD src1_sel:WORD_1
	v_fma_f16 v51, v56, v4, v2
	v_mul_f16_sdwa v2, v56, v4 dst_sel:DWORD dst_unused:UNUSED_PAD src0_sel:DWORD src1_sel:WORD_1
	v_sub_f16_e32 v31, v5, v31
	v_fma_f16 v4, v48, v4, -v2
	v_fma_f16 v2, v5, 2.0, -v31
	v_sub_f16_e32 v5, v58, v46
	v_fma_f16 v46, v58, 2.0, -v5
	v_sub_f16_e32 v46, v2, v46
	v_fma_f16 v48, v2, 2.0, -v46
	v_lshlrev_b32_e32 v2, 2, v0
	v_sub_f16_e32 v39, v6, v39
	v_and_or_b32 v60, v2, s2, v28
	v_fma_f16 v6, v6, 2.0, -v39
	v_add_f16_e32 v39, v31, v39
	v_lshl_add_u32 v60, v60, 1, 0
	v_fma_f16 v31, v31, 2.0, -v39
	ds_read_u16 v56, v22
	ds_read_u16 v57, v23
	;; [unrolled: 1-line block ×4, first 2 shown]
	s_waitcnt lgkmcnt(0)
	s_barrier
	ds_write_b16 v60, v48
	ds_write_b16 v60, v31 offset:8
	ds_write_b16 v60, v46 offset:16
	ds_write_b16 v60, v39 offset:24
	v_sub_f16_e32 v31, v30, v33
	v_sub_f16_e32 v33, v50, v42
	v_fma_f16 v30, v30, 2.0, -v31
	v_fma_f16 v39, v50, 2.0, -v33
	s_movk_i32 s2, 0x3f0
	v_lshlrev_b32_e32 v42, 2, v1
	v_sub_f16_e32 v39, v30, v39
	v_and_or_b32 v46, v42, s2, v28
	v_fma_f16 v30, v30, 2.0, -v39
	v_lshl_add_u32 v46, v46, 1, 0
	v_sub_f16_e32 v26, v7, v26
	ds_write_b16 v46, v30
	v_add_f16_e32 v30, v31, v26
	v_fma_f16 v31, v31, 2.0, -v30
	ds_write_b16 v46, v31 offset:8
	ds_write_b16 v46, v39 offset:16
	;; [unrolled: 1-line block ×3, first 2 shown]
	v_sub_f16_e32 v31, v32, v34
	v_sub_f16_e32 v34, v49, v37
	v_lshlrev_b32_e32 v30, 2, v14
	v_fma_f16 v32, v32, 2.0, -v31
	v_fma_f16 v37, v49, 2.0, -v34
	s_movk_i32 s2, 0x5f0
	v_sub_f16_e32 v37, v32, v37
	v_and_or_b32 v39, v30, s2, v28
	v_fma_f16 v32, v32, 2.0, -v37
	v_lshl_add_u32 v39, v39, 1, 0
	ds_write_b16 v39, v32
	v_sub_f16_e32 v32, v8, v45
	v_add_f16_e32 v45, v31, v32
	v_fma_f16 v31, v31, 2.0, -v45
	ds_write_b16 v39, v31 offset:8
	ds_write_b16 v39, v37 offset:16
	v_sub_f16_e32 v35, v36, v35
	v_sub_f16_e32 v37, v54, v41
	v_lshlrev_b32_e32 v31, 2, v15
	v_fma_f16 v36, v36, 2.0, -v35
	v_sub_f16_e32 v41, v9, v47
	v_fma_f16 v47, v54, 2.0, -v37
	s_movk_i32 s2, 0x7f0
	v_sub_f16_e32 v47, v36, v47
	ds_write_b16 v39, v45 offset:24
	v_and_or_b32 v45, v31, s2, v28
	v_fma_f16 v36, v36, 2.0, -v47
	v_lshl_add_u32 v45, v45, 1, 0
	ds_write_b16 v45, v36
	v_add_f16_e32 v36, v35, v41
	v_fma_f16 v35, v35, 2.0, -v36
	v_sub_f16_e32 v43, v52, v43
	v_sub_f16_e32 v49, v38, v53
	;; [unrolled: 1-line block ×3, first 2 shown]
	ds_write_b16 v45, v35 offset:8
	v_lshlrev_b32_e32 v35, 2, v16
	v_fma_f16 v48, v52, 2.0, -v43
	v_fma_f16 v38, v38, 2.0, -v49
	v_sub_f16_e32 v4, v44, v4
	v_fma_f16 v51, v55, 2.0, -v50
	s_movk_i32 s2, 0x9f0
	v_sub_f16_e32 v6, v48, v6
	v_sub_f16_e32 v51, v38, v51
	ds_write_b16 v45, v47 offset:16
	v_add_f16_e32 v47, v49, v4
	v_and_or_b32 v28, v35, s2, v28
	v_sub_f16_e32 v5, v43, v5
	v_fma_f16 v48, v48, 2.0, -v6
	v_fma_f16 v38, v38, 2.0, -v51
	;; [unrolled: 1-line block ×3, first 2 shown]
	v_lshl_add_u32 v28, v28, 1, 0
	v_fma_f16 v43, v43, 2.0, -v5
	ds_write_b16 v45, v36 offset:24
	ds_write_b16 v28, v38
	ds_write_b16 v28, v49 offset:8
	ds_write_b16 v28, v51 offset:16
	;; [unrolled: 1-line block ×3, first 2 shown]
	s_waitcnt lgkmcnt(0)
	s_barrier
	ds_read_u16 v36, v17
	ds_read_u16 v38, v17 offset:1280
	ds_read_u16 v47, v17 offset:1536
	;; [unrolled: 1-line block ×6, first 2 shown]
	ds_read_u16 v54, v22
	ds_read_u16 v55, v23
	;; [unrolled: 1-line block ×4, first 2 shown]
	ds_read_u16 v63, v17 offset:2816
	ds_read_u16 v64, v17 offset:2560
	ds_read_u16 v65, v17 offset:2304
	ds_read_u16 v66, v17 offset:4352
	ds_read_u16 v67, v17 offset:4608
	ds_read_u16 v68, v17 offset:4864
	ds_read_u16 v69, v17 offset:4096
	ds_read_u16 v70, v17 offset:3840
	ds_read_u16 v71, v17 offset:3584
	s_waitcnt lgkmcnt(0)
	s_barrier
	ds_write_b16 v60, v48
	ds_write_b16 v60, v43 offset:8
	ds_write_b16 v60, v6 offset:16
	;; [unrolled: 1-line block ×3, first 2 shown]
	v_sub_f16_e32 v6, v56, v40
	v_fma_f16 v5, v7, 2.0, -v26
	v_fma_f16 v7, v56, 2.0, -v6
	v_sub_f16_e32 v5, v7, v5
	v_fma_f16 v7, v7, 2.0, -v5
	ds_write_b16 v46, v7
	v_sub_f16_e32 v7, v6, v33
	v_fma_f16 v6, v6, 2.0, -v7
	ds_write_b16 v46, v6 offset:8
	ds_write_b16 v46, v5 offset:16
	;; [unrolled: 1-line block ×3, first 2 shown]
	v_sub_f16_e32 v7, v57, v27
	v_fma_f16 v5, v8, 2.0, -v32
	v_fma_f16 v8, v57, 2.0, -v7
	v_sub_f16_e32 v5, v8, v5
	v_fma_f16 v6, v9, 2.0, -v41
	v_fma_f16 v8, v8, 2.0, -v5
	v_sub_f16_e32 v9, v58, v29
	v_sub_f16_e32 v3, v59, v3
	v_fma_f16 v4, v44, 2.0, -v4
	ds_write_b16 v39, v8
	v_sub_f16_e32 v8, v7, v34
	v_fma_f16 v26, v58, 2.0, -v9
	v_fma_f16 v29, v59, 2.0, -v3
	v_sub_f16_e32 v32, v3, v50
	v_fma_f16 v7, v7, 2.0, -v8
	v_sub_f16_e32 v6, v26, v6
	v_sub_f16_e32 v27, v9, v37
	;; [unrolled: 1-line block ×3, first 2 shown]
	v_fma_f16 v3, v3, 2.0, -v32
	v_fma_f16 v26, v26, 2.0, -v6
	;; [unrolled: 1-line block ×4, first 2 shown]
	ds_write_b16 v39, v7 offset:8
	ds_write_b16 v39, v5 offset:16
	;; [unrolled: 1-line block ×3, first 2 shown]
	ds_write_b16 v45, v26
	ds_write_b16 v45, v9 offset:8
	ds_write_b16 v45, v6 offset:16
	;; [unrolled: 1-line block ×3, first 2 shown]
	ds_write_b16 v28, v29
	ds_write_b16 v28, v3 offset:8
	ds_write_b16 v28, v4 offset:16
	;; [unrolled: 1-line block ×3, first 2 shown]
	v_and_b32_e32 v3, 15, v0
	v_mul_u32_u24_e32 v4, 3, v3
	v_lshlrev_b32_e32 v4, 2, v4
	s_waitcnt lgkmcnt(0)
	s_barrier
	global_load_dwordx3 v[4:6], v4, s[8:9] offset:48
	ds_read_u16 v7, v17 offset:4352
	ds_read_u16 v8, v17 offset:4608
	;; [unrolled: 1-line block ×12, first 2 shown]
	ds_read_u16 v40, v17
	s_movk_i32 s2, 0x1c0
	v_and_or_b32 v2, v2, s2, v3
	v_lshl_add_u32 v2, v2, 1, 0
	s_movk_i32 s2, 0x3c0
	s_waitcnt vmcnt(0) lgkmcnt(7)
	v_mul_f16_sdwa v41, v28, v4 dst_sel:DWORD dst_unused:UNUSED_PAD src0_sel:DWORD src1_sel:WORD_1
	v_mul_f16_sdwa v48, v70, v6 dst_sel:DWORD dst_unused:UNUSED_PAD src0_sel:DWORD src1_sel:WORD_1
	v_fma_f16 v41, v38, v4, v41
	v_mul_f16_sdwa v38, v38, v4 dst_sel:DWORD dst_unused:UNUSED_PAD src0_sel:DWORD src1_sel:WORD_1
	v_mul_f16_sdwa v43, v64, v5 dst_sel:DWORD dst_unused:UNUSED_PAD src0_sel:DWORD src1_sel:WORD_1
	v_mul_f16_sdwa v46, v27, v6 dst_sel:DWORD dst_unused:UNUSED_PAD src0_sel:DWORD src1_sel:WORD_1
	v_fma_f16 v27, v27, v6, -v48
	s_waitcnt lgkmcnt(6)
	v_mul_f16_sdwa v48, v29, v4 dst_sel:DWORD dst_unused:UNUSED_PAD src0_sel:DWORD src1_sel:WORD_1
	v_fma_f16 v28, v28, v4, -v38
	s_waitcnt lgkmcnt(2)
	v_mul_f16_sdwa v38, v37, v5 dst_sel:DWORD dst_unused:UNUSED_PAD src0_sel:DWORD src1_sel:WORD_1
	v_fma_f16 v37, v37, v5, -v43
	ds_read_u16 v43, v17 offset:3072
	ds_read_u16 v44, v17 offset:3328
	;; [unrolled: 1-line block ×3, first 2 shown]
	v_fma_f16 v48, v47, v4, v48
	v_mul_f16_sdwa v47, v47, v4 dst_sel:DWORD dst_unused:UNUSED_PAD src0_sel:DWORD src1_sel:WORD_1
	v_mul_f16_sdwa v50, v63, v5 dst_sel:DWORD dst_unused:UNUSED_PAD src0_sel:DWORD src1_sel:WORD_1
	;; [unrolled: 1-line block ×3, first 2 shown]
	v_fma_f16 v47, v29, v4, -v47
	v_mul_f16_sdwa v29, v34, v5 dst_sel:DWORD dst_unused:UNUSED_PAD src0_sel:DWORD src1_sel:WORD_1
	v_fma_f16 v50, v34, v5, -v50
	v_mul_f16_sdwa v34, v26, v6 dst_sel:DWORD dst_unused:UNUSED_PAD src0_sel:DWORD src1_sel:WORD_1
	;; [unrolled: 2-line block ×3, first 2 shown]
	v_fma_f16 v56, v49, v4, v56
	v_mul_f16_sdwa v49, v49, v4 dst_sel:DWORD dst_unused:UNUSED_PAD src0_sel:DWORD src1_sel:WORD_1
	v_fma_f16 v49, v32, v4, -v49
	s_waitcnt lgkmcnt(2)
	v_mul_f16_sdwa v32, v43, v5 dst_sel:DWORD dst_unused:UNUSED_PAD src0_sel:DWORD src1_sel:WORD_1
	v_fma_f16 v32, v52, v5, v32
	v_mul_f16_sdwa v52, v52, v5 dst_sel:DWORD dst_unused:UNUSED_PAD src0_sel:DWORD src1_sel:WORD_1
	v_mul_f16_sdwa v57, v66, v6 dst_sel:DWORD dst_unused:UNUSED_PAD src0_sel:DWORD src1_sel:WORD_1
	v_fma_f16 v52, v43, v5, -v52
	v_mul_f16_sdwa v43, v7, v6 dst_sel:DWORD dst_unused:UNUSED_PAD src0_sel:DWORD src1_sel:WORD_1
	v_fma_f16 v7, v7, v6, -v57
	v_mul_f16_sdwa v57, v33, v4 dst_sel:DWORD dst_unused:UNUSED_PAD src0_sel:DWORD src1_sel:WORD_1
	v_fma_f16 v57, v51, v4, v57
	v_mul_f16_sdwa v51, v51, v4 dst_sel:DWORD dst_unused:UNUSED_PAD src0_sel:DWORD src1_sel:WORD_1
	v_fma_f16 v51, v33, v4, -v51
	s_waitcnt lgkmcnt(1)
	v_mul_f16_sdwa v33, v44, v5 dst_sel:DWORD dst_unused:UNUSED_PAD src0_sel:DWORD src1_sel:WORD_1
	v_fma_f16 v33, v53, v5, v33
	v_mul_f16_sdwa v53, v53, v5 dst_sel:DWORD dst_unused:UNUSED_PAD src0_sel:DWORD src1_sel:WORD_1
	v_mul_f16_sdwa v58, v67, v6 dst_sel:DWORD dst_unused:UNUSED_PAD src0_sel:DWORD src1_sel:WORD_1
	v_fma_f16 v53, v44, v5, -v53
	v_mul_f16_sdwa v44, v8, v6 dst_sel:DWORD dst_unused:UNUSED_PAD src0_sel:DWORD src1_sel:WORD_1
	v_fma_f16 v8, v8, v6, -v58
	v_mul_f16_sdwa v58, v39, v4 dst_sel:DWORD dst_unused:UNUSED_PAD src0_sel:DWORD src1_sel:WORD_1
	v_mul_f16_sdwa v59, v65, v4 dst_sel:DWORD dst_unused:UNUSED_PAD src0_sel:DWORD src1_sel:WORD_1
	v_fma_f16 v58, v65, v4, v58
	v_fma_f16 v4, v39, v4, -v59
	s_waitcnt lgkmcnt(0)
	v_mul_f16_sdwa v39, v45, v5 dst_sel:DWORD dst_unused:UNUSED_PAD src0_sel:DWORD src1_sel:WORD_1
	v_mul_f16_sdwa v59, v71, v5 dst_sel:DWORD dst_unused:UNUSED_PAD src0_sel:DWORD src1_sel:WORD_1
	v_fma_f16 v38, v64, v5, v38
	v_fma_f16 v46, v70, v6, v46
	;; [unrolled: 1-line block ×4, first 2 shown]
	v_fma_f16 v5, v45, v5, -v59
	v_mul_f16_sdwa v45, v9, v6 dst_sel:DWORD dst_unused:UNUSED_PAD src0_sel:DWORD src1_sel:WORD_1
	v_mul_f16_sdwa v59, v68, v6 dst_sel:DWORD dst_unused:UNUSED_PAD src0_sel:DWORD src1_sel:WORD_1
	v_fma_f16 v34, v69, v6, v34
	v_fma_f16 v43, v66, v6, v43
	;; [unrolled: 1-line block ×4, first 2 shown]
	v_fma_f16 v6, v9, v6, -v59
	v_sub_f16_e32 v9, v36, v38
	v_sub_f16_e32 v59, v41, v46
	v_fma_f16 v36, v36, 2.0, -v9
	v_fma_f16 v38, v41, 2.0, -v59
	v_sub_f16_e32 v27, v28, v27
	v_sub_f16_e32 v38, v36, v38
	v_fma_f16 v28, v28, 2.0, -v27
	v_add_f16_e32 v27, v9, v27
	v_fma_f16 v36, v36, 2.0, -v38
	v_fma_f16 v9, v9, 2.0, -v27
	ds_read_u16 v60, v22
	ds_read_u16 v63, v23
	;; [unrolled: 1-line block ×4, first 2 shown]
	s_waitcnt lgkmcnt(0)
	s_barrier
	ds_write_b16 v2, v36
	ds_write_b16 v2, v9 offset:32
	ds_write_b16 v2, v38 offset:64
	ds_write_b16 v2, v27 offset:96
	v_sub_f16_e32 v9, v54, v29
	v_fma_f16 v27, v54, 2.0, -v9
	v_sub_f16_e32 v54, v48, v34
	v_fma_f16 v29, v48, 2.0, -v54
	v_sub_f16_e32 v29, v27, v29
	v_and_or_b32 v34, v42, s2, v3
	v_fma_f16 v27, v27, 2.0, -v29
	v_lshl_add_u32 v48, v34, 1, 0
	v_sub_f16_e32 v26, v47, v26
	ds_write_b16 v48, v27
	v_add_f16_e32 v27, v9, v26
	v_fma_f16 v9, v9, 2.0, -v27
	ds_write_b16 v48, v9 offset:32
	ds_write_b16 v48, v29 offset:64
	ds_write_b16 v48, v27 offset:96
	v_sub_f16_e32 v9, v40, v37
	v_fma_f16 v27, v40, 2.0, -v9
	v_sub_f16_e32 v66, v27, v28
	v_fma_f16 v67, v27, 2.0, -v66
	;; [unrolled: 2-line block ×3, first 2 shown]
	v_sub_f16_e32 v55, v56, v43
	s_movk_i32 s2, 0x5c0
	v_fma_f16 v29, v56, 2.0, -v55
	v_and_or_b32 v30, v30, s2, v3
	v_sub_f16_e32 v29, v28, v29
	v_lshl_add_u32 v56, v30, 1, 0
	v_sub_f16_e32 v30, v61, v33
	v_sub_f16_e32 v7, v49, v7
	v_fma_f16 v28, v28, 2.0, -v29
	v_fma_f16 v32, v61, 2.0, -v30
	v_sub_f16_e32 v61, v57, v44
	ds_write_b16 v56, v28
	v_add_f16_e32 v28, v27, v7
	v_fma_f16 v33, v57, 2.0, -v61
	v_sub_f16_e32 v34, v62, v39
	v_sub_f16_e32 v57, v58, v45
	s_movk_i32 s2, 0x7c0
	v_fma_f16 v27, v27, 2.0, -v28
	v_sub_f16_e32 v8, v51, v8
	v_fma_f16 v36, v62, 2.0, -v34
	v_sub_f16_e32 v6, v4, v6
	v_fma_f16 v37, v58, 2.0, -v57
	ds_write_b16 v56, v28 offset:96
	v_and_or_b32 v28, v31, s2, v3
	s_movk_i32 s2, 0x9c0
	v_sub_f16_e32 v33, v32, v33
	ds_write_b16 v56, v27 offset:32
	v_add_f16_e32 v27, v30, v8
	v_sub_f16_e32 v37, v36, v37
	ds_write_b16 v56, v29 offset:64
	v_add_f16_e32 v29, v34, v6
	v_and_or_b32 v3, v35, s2, v3
	v_sub_f16_e32 v59, v9, v59
	v_fma_f16 v32, v32, 2.0, -v33
	v_fma_f16 v30, v30, 2.0, -v27
	;; [unrolled: 1-line block ×4, first 2 shown]
	v_lshl_add_u32 v58, v28, 1, 0
	v_lshl_add_u32 v3, v3, 1, 0
	v_fma_f16 v9, v9, 2.0, -v59
	v_fma_f16 v4, v4, 2.0, -v6
	v_sub_f16_e32 v6, v60, v50
	ds_write_b16 v58, v32
	ds_write_b16 v58, v30 offset:32
	ds_write_b16 v58, v33 offset:64
	;; [unrolled: 1-line block ×3, first 2 shown]
	ds_write_b16 v3, v36
	ds_write_b16 v3, v34 offset:32
	ds_write_b16 v3, v37 offset:64
	;; [unrolled: 1-line block ×3, first 2 shown]
	s_waitcnt lgkmcnt(0)
	s_barrier
	ds_read_u16 v28, v17
	ds_read_u16 v41, v17 offset:768
	ds_read_u16 v36, v17 offset:2560
	;; [unrolled: 1-line block ×15, first 2 shown]
	ds_read_u16 v45, v25
	ds_read_u16 v46, v23
	;; [unrolled: 1-line block ×3, first 2 shown]
	ds_read_u16 v31, v17 offset:4864
	s_waitcnt lgkmcnt(0)
	s_barrier
	ds_write_b16 v2, v67
	ds_write_b16 v2, v9 offset:32
	ds_write_b16 v2, v66 offset:64
	;; [unrolled: 1-line block ×3, first 2 shown]
	v_fma_f16 v2, v47, 2.0, -v26
	v_fma_f16 v9, v60, 2.0, -v6
	v_sub_f16_e32 v2, v9, v2
	v_fma_f16 v9, v9, 2.0, -v2
	v_sub_f16_e32 v26, v63, v52
	v_sub_f16_e32 v50, v64, v53
	;; [unrolled: 1-line block ×3, first 2 shown]
	v_fma_f16 v7, v49, 2.0, -v7
	v_fma_f16 v8, v51, 2.0, -v8
	ds_write_b16 v48, v9
	v_sub_f16_e32 v9, v6, v54
	v_fma_f16 v47, v63, 2.0, -v26
	v_sub_f16_e32 v49, v26, v55
	v_fma_f16 v51, v64, 2.0, -v50
	v_fma_f16 v53, v65, 2.0, -v5
	;; [unrolled: 1-line block ×3, first 2 shown]
	v_sub_f16_e32 v7, v47, v7
	v_fma_f16 v26, v26, 2.0, -v49
	v_sub_f16_e32 v8, v51, v8
	v_sub_f16_e32 v52, v50, v61
	;; [unrolled: 1-line block ×4, first 2 shown]
	v_fma_f16 v47, v47, 2.0, -v7
	v_fma_f16 v51, v51, 2.0, -v8
	;; [unrolled: 1-line block ×5, first 2 shown]
	ds_write_b16 v48, v6 offset:32
	ds_write_b16 v48, v2 offset:64
	ds_write_b16 v48, v9 offset:96
	ds_write_b16 v56, v47
	ds_write_b16 v56, v26 offset:32
	ds_write_b16 v56, v7 offset:64
	ds_write_b16 v56, v49 offset:96
	ds_write_b16 v58, v51
	;; [unrolled: 4-line block ×3, first 2 shown]
	ds_write_b16 v3, v5 offset:32
	ds_write_b16 v3, v4 offset:64
	;; [unrolled: 1-line block ×3, first 2 shown]
	v_and_b32_e32 v26, 63, v0
	v_mul_u32_u24_e32 v2, 9, v26
	v_lshlrev_b32_e32 v47, 2, v2
	s_waitcnt lgkmcnt(0)
	s_barrier
	global_load_dwordx4 v[6:9], v47, s[8:9] offset:240
	global_load_dwordx4 v[2:5], v47, s[8:9] offset:256
	ds_read_u16 v48, v25
	ds_read_u16 v49, v23
	ds_read_u16 v50, v17 offset:2560
	global_load_dword v47, v47, s[8:9] offset:272
	ds_read_u16 v51, v17 offset:2304
	ds_read_u16 v52, v17 offset:2048
	;; [unrolled: 1-line block ×6, first 2 shown]
	ds_read_u16 v57, v22
	ds_read_u16 v59, v17 offset:768
	s_movk_i32 s2, 0x38b4
	s_waitcnt vmcnt(2) lgkmcnt(9)
	v_mul_f16_sdwa v58, v49, v6 dst_sel:DWORD dst_unused:UNUSED_PAD src0_sel:DWORD src1_sel:WORD_1
	v_fma_f16 v58, v46, v6, v58
	v_mul_f16_sdwa v46, v46, v6 dst_sel:DWORD dst_unused:UNUSED_PAD src0_sel:DWORD src1_sel:WORD_1
	v_fma_f16 v46, v49, v6, -v46
	v_mul_f16_sdwa v49, v48, v7 dst_sel:DWORD dst_unused:UNUSED_PAD src0_sel:DWORD src1_sel:WORD_1
	v_fma_f16 v49, v45, v7, v49
	v_mul_f16_sdwa v45, v45, v7 dst_sel:DWORD dst_unused:UNUSED_PAD src0_sel:DWORD src1_sel:WORD_1
	v_fma_f16 v45, v48, v7, -v45
	s_waitcnt lgkmcnt(4)
	v_mul_f16_sdwa v48, v54, v8 dst_sel:DWORD dst_unused:UNUSED_PAD src0_sel:DWORD src1_sel:WORD_1
	v_fma_f16 v48, v44, v8, v48
	v_mul_f16_sdwa v44, v44, v8 dst_sel:DWORD dst_unused:UNUSED_PAD src0_sel:DWORD src1_sel:WORD_1
	v_fma_f16 v44, v54, v8, -v44
	v_mul_f16_sdwa v54, v52, v9 dst_sel:DWORD dst_unused:UNUSED_PAD src0_sel:DWORD src1_sel:WORD_1
	v_fma_f16 v54, v43, v9, v54
	v_mul_f16_sdwa v43, v43, v9 dst_sel:DWORD dst_unused:UNUSED_PAD src0_sel:DWORD src1_sel:WORD_1
	v_fma_f16 v43, v52, v9, -v43
	ds_read_u16 v52, v17
	s_waitcnt lgkmcnt(1)
	v_mul_f16_sdwa v60, v59, v6 dst_sel:DWORD dst_unused:UNUSED_PAD src0_sel:DWORD src1_sel:WORD_1
	v_fma_f16 v60, v41, v6, v60
	v_mul_f16_sdwa v41, v41, v6 dst_sel:DWORD dst_unused:UNUSED_PAD src0_sel:DWORD src1_sel:WORD_1
	v_fma_f16 v6, v59, v6, -v41
	v_mul_f16_sdwa v41, v55, v7 dst_sel:DWORD dst_unused:UNUSED_PAD src0_sel:DWORD src1_sel:WORD_1
	v_fma_f16 v41, v42, v7, v41
	v_mul_f16_sdwa v42, v42, v7 dst_sel:DWORD dst_unused:UNUSED_PAD src0_sel:DWORD src1_sel:WORD_1
	v_fma_f16 v7, v55, v7, -v42
	;; [unrolled: 4-line block ×4, first 2 shown]
	ds_read_u16 v39, v17 offset:3072
	s_waitcnt vmcnt(1)
	v_mul_f16_sdwa v51, v50, v2 dst_sel:DWORD dst_unused:UNUSED_PAD src0_sel:DWORD src1_sel:WORD_1
	v_fma_f16 v51, v36, v2, v51
	v_mul_f16_sdwa v36, v36, v2 dst_sel:DWORD dst_unused:UNUSED_PAD src0_sel:DWORD src1_sel:WORD_1
	v_fma_f16 v36, v50, v2, -v36
	ds_read_u16 v50, v17 offset:4352
	ds_read_u16 v53, v17 offset:4608
	ds_read_u16 v55, v17 offset:4096
	ds_read_u16 v59, v17 offset:3840
	ds_read_u16 v61, v17 offset:3584
	ds_read_u16 v62, v17 offset:3328
	ds_read_u16 v63, v17 offset:2816
	s_waitcnt lgkmcnt(7)
	v_mul_f16_sdwa v64, v39, v3 dst_sel:DWORD dst_unused:UNUSED_PAD src0_sel:DWORD src1_sel:WORD_1
	v_fma_f16 v64, v38, v3, v64
	v_mul_f16_sdwa v38, v38, v3 dst_sel:DWORD dst_unused:UNUSED_PAD src0_sel:DWORD src1_sel:WORD_1
	v_fma_f16 v38, v39, v3, -v38
	s_waitcnt lgkmcnt(2)
	v_mul_f16_sdwa v39, v61, v4 dst_sel:DWORD dst_unused:UNUSED_PAD src0_sel:DWORD src1_sel:WORD_1
	v_fma_f16 v39, v37, v4, v39
	v_mul_f16_sdwa v37, v37, v4 dst_sel:DWORD dst_unused:UNUSED_PAD src0_sel:DWORD src1_sel:WORD_1
	v_fma_f16 v37, v61, v4, -v37
	v_mul_f16_sdwa v61, v55, v5 dst_sel:DWORD dst_unused:UNUSED_PAD src0_sel:DWORD src1_sel:WORD_1
	v_fma_f16 v61, v34, v5, v61
	v_mul_f16_sdwa v34, v34, v5 dst_sel:DWORD dst_unused:UNUSED_PAD src0_sel:DWORD src1_sel:WORD_1
	v_fma_f16 v34, v55, v5, -v34
	s_waitcnt lgkmcnt(0)
	v_mul_f16_sdwa v55, v63, v2 dst_sel:DWORD dst_unused:UNUSED_PAD src0_sel:DWORD src1_sel:WORD_1
	v_fma_f16 v55, v35, v2, v55
	v_mul_f16_sdwa v35, v35, v2 dst_sel:DWORD dst_unused:UNUSED_PAD src0_sel:DWORD src1_sel:WORD_1
	v_fma_f16 v2, v63, v2, -v35
	v_mul_f16_sdwa v35, v62, v3 dst_sel:DWORD dst_unused:UNUSED_PAD src0_sel:DWORD src1_sel:WORD_1
	v_fma_f16 v35, v33, v3, v35
	v_mul_f16_sdwa v33, v33, v3 dst_sel:DWORD dst_unused:UNUSED_PAD src0_sel:DWORD src1_sel:WORD_1
	v_fma_f16 v3, v62, v3, -v33
	;; [unrolled: 4-line block ×4, first 2 shown]
	s_waitcnt vmcnt(0)
	v_mul_f16_sdwa v30, v53, v47 dst_sel:DWORD dst_unused:UNUSED_PAD src0_sel:DWORD src1_sel:WORD_1
	v_mul_f16_sdwa v50, v56, v47 dst_sel:DWORD dst_unused:UNUSED_PAD src0_sel:DWORD src1_sel:WORD_1
	v_fma_f16 v30, v29, v47, v30
	v_mul_f16_sdwa v29, v29, v47 dst_sel:DWORD dst_unused:UNUSED_PAD src0_sel:DWORD src1_sel:WORD_1
	v_fma_f16 v50, v31, v47, v50
	v_mul_f16_sdwa v31, v31, v47 dst_sel:DWORD dst_unused:UNUSED_PAD src0_sel:DWORD src1_sel:WORD_1
	v_fma_f16 v29, v53, v47, -v29
	v_fma_f16 v31, v56, v47, -v31
	v_sub_f16_e32 v47, v49, v54
	v_sub_f16_e32 v53, v61, v64
	v_add_f16_e32 v47, v47, v53
	v_add_f16_e32 v53, v54, v64
	v_fma_f16 v53, v53, -0.5, v28
	v_sub_f16_e32 v56, v45, v34
	v_fma_f16 v59, v56, s10, v53
	v_sub_f16_e32 v62, v43, v38
	v_fma_f16 v53, v56, s3, v53
	v_fma_f16 v59, v62, s5, v59
	;; [unrolled: 1-line block ×5, first 2 shown]
	v_sub_f16_e32 v53, v54, v49
	v_sub_f16_e32 v63, v64, v61
	v_add_f16_e32 v53, v53, v63
	v_add_f16_e32 v63, v49, v61
	v_fma_f16 v63, v63, -0.5, v28
	v_add_f16_e32 v28, v28, v49
	v_fma_f16 v65, v62, s3, v63
	v_fma_f16 v62, v62, s10, v63
	v_add_f16_e32 v28, v28, v54
	v_fma_f16 v63, v56, s5, v65
	v_fma_f16 v56, v56, s2, v62
	;; [unrolled: 3-line block ×3, first 2 shown]
	v_add_f16_e32 v28, v28, v61
	v_sub_f16_e32 v49, v49, v61
	v_sub_f16_e32 v56, v45, v43
	;; [unrolled: 1-line block ×3, first 2 shown]
	v_add_f16_e32 v56, v56, v61
	v_add_f16_e32 v61, v43, v38
	v_fma_f16 v61, v61, -0.5, v52
	v_sub_f16_e32 v54, v54, v64
	v_fma_f16 v63, v49, s3, v61
	v_fma_f16 v61, v49, s10, v61
	v_fma_f16 v63, v54, s2, v63
	v_fma_f16 v61, v54, s5, v61
	v_fma_f16 v63, v56, s4, v63
	v_fma_f16 v56, v56, s4, v61
	v_add_f16_e32 v61, v45, v34
	v_fma_f16 v61, v61, -0.5, v52
	v_add_f16_e32 v52, v52, v45
	v_add_f16_e32 v52, v52, v43
	v_sub_f16_e32 v43, v43, v45
	v_add_f16_e32 v45, v52, v38
	v_add_f16_e32 v45, v45, v34
	v_sub_f16_e32 v34, v38, v34
	v_add_f16_e32 v34, v43, v34
	v_fma_f16 v38, v54, s10, v61
	v_fma_f16 v43, v54, s3, v61
	;; [unrolled: 1-line block ×6, first 2 shown]
	v_sub_f16_e32 v43, v48, v51
	v_sub_f16_e32 v49, v30, v39
	v_add_f16_e32 v43, v43, v49
	v_add_f16_e32 v49, v51, v39
	v_fma_f16 v49, v49, -0.5, v58
	v_sub_f16_e32 v52, v44, v29
	v_fma_f16 v54, v52, s10, v49
	v_sub_f16_e32 v61, v36, v37
	v_fma_f16 v49, v52, s3, v49
	v_fma_f16 v54, v61, s5, v54
	;; [unrolled: 1-line block ×5, first 2 shown]
	v_sub_f16_e32 v49, v51, v48
	v_sub_f16_e32 v64, v39, v30
	v_add_f16_e32 v49, v49, v64
	v_add_f16_e32 v64, v48, v30
	v_fma_f16 v64, v64, -0.5, v58
	v_fma_f16 v65, v61, s3, v64
	v_fma_f16 v61, v61, s10, v64
	;; [unrolled: 1-line block ×6, first 2 shown]
	v_add_f16_e32 v52, v58, v48
	v_add_f16_e32 v52, v52, v51
	;; [unrolled: 1-line block ×4, first 2 shown]
	v_sub_f16_e32 v30, v48, v30
	v_sub_f16_e32 v39, v51, v39
	;; [unrolled: 1-line block ×4, first 2 shown]
	v_add_f16_e32 v48, v48, v51
	v_add_f16_e32 v51, v36, v37
	v_fma_f16 v51, v51, -0.5, v46
	v_fma_f16 v58, v30, s3, v51
	v_fma_f16 v51, v30, s10, v51
	;; [unrolled: 1-line block ×6, first 2 shown]
	v_add_f16_e32 v51, v44, v29
	v_fma_f16 v51, v51, -0.5, v46
	v_add_f16_e32 v46, v46, v44
	v_add_f16_e32 v46, v46, v36
	v_sub_f16_e32 v36, v36, v44
	v_add_f16_e32 v44, v46, v37
	v_add_f16_e32 v44, v44, v29
	v_sub_f16_e32 v29, v37, v29
	v_add_f16_e32 v29, v36, v29
	v_fma_f16 v36, v39, s10, v51
	v_fma_f16 v37, v39, s3, v51
	;; [unrolled: 1-line block ×6, first 2 shown]
	v_mul_f16_e32 v39, 0xbb9c, v36
	v_mul_f16_e32 v46, 0xbb9c, v29
	;; [unrolled: 1-line block ×3, first 2 shown]
	v_fma_f16 v39, v61, s4, v39
	v_mul_f16_e32 v36, 0x34f2, v36
	v_fma_f16 v46, v49, s12, v46
	v_fma_f16 v29, v49, s3, v29
	v_mul_f16_e32 v49, 0xb8b4, v48
	v_mul_f16_e32 v48, 0xba79, v48
	;; [unrolled: 1-line block ×3, first 2 shown]
	v_fma_f16 v36, v61, s3, v36
	v_fma_f16 v49, v43, s11, v49
	v_fma_f16 v43, v43, s2, v48
	v_add_f16_e32 v48, v28, v52
	v_sub_f16_e32 v28, v28, v52
	v_add_f16_e32 v52, v62, v39
	v_sub_f16_e32 v39, v62, v39
	;; [unrolled: 2-line block ×3, first 2 shown]
	v_sub_f16_e32 v29, v41, v40
	v_sub_f16_e32 v34, v32, v35
	v_fma_f16 v30, v54, s13, v30
	v_mul_f16_e32 v37, 0x3a79, v58
	v_add_f16_e32 v29, v29, v34
	v_add_f16_e32 v34, v40, v35
	v_fma_f16 v37, v54, s2, v37
	v_add_f16_e32 v51, v59, v30
	v_sub_f16_e32 v30, v59, v30
	v_add_f16_e32 v59, v38, v36
	v_sub_f16_e32 v38, v38, v36
	v_fma_f16 v34, v34, -0.5, v27
	v_sub_f16_e32 v36, v7, v5
	v_add_f16_e32 v54, v53, v46
	v_sub_f16_e32 v46, v53, v46
	v_add_f16_e32 v53, v47, v49
	;; [unrolled: 2-line block ×5, first 2 shown]
	v_sub_f16_e32 v43, v56, v43
	v_fma_f16 v37, v36, s10, v34
	v_sub_f16_e32 v56, v9, v3
	v_fma_f16 v34, v36, s3, v34
	v_fma_f16 v37, v56, s5, v37
	;; [unrolled: 1-line block ×5, first 2 shown]
	v_sub_f16_e32 v34, v40, v41
	v_sub_f16_e32 v64, v35, v32
	v_add_f16_e32 v34, v34, v64
	v_add_f16_e32 v64, v41, v32
	v_fma_f16 v64, v64, -0.5, v27
	v_fma_f16 v65, v56, s3, v64
	v_fma_f16 v56, v56, s10, v64
	v_add_f16_e32 v27, v27, v41
	v_fma_f16 v64, v36, s5, v65
	v_fma_f16 v36, v36, s2, v56
	v_add_f16_e32 v27, v27, v40
	;; [unrolled: 3-line block ×3, first 2 shown]
	v_sub_f16_e32 v35, v40, v35
	v_sub_f16_e32 v36, v7, v9
	v_sub_f16_e32 v40, v5, v3
	v_add_f16_e32 v36, v36, v40
	v_add_f16_e32 v40, v9, v3
	;; [unrolled: 1-line block ×3, first 2 shown]
	v_sub_f16_e32 v32, v41, v32
	v_fma_f16 v40, v40, -0.5, v57
	v_fma_f16 v41, v32, s3, v40
	v_fma_f16 v40, v32, s10, v40
	;; [unrolled: 1-line block ×6, first 2 shown]
	v_add_f16_e32 v40, v7, v5
	v_fma_f16 v40, v40, -0.5, v57
	v_add_f16_e32 v57, v57, v7
	v_add_f16_e32 v57, v57, v9
	v_sub_f16_e32 v7, v9, v7
	v_add_f16_e32 v9, v57, v3
	v_sub_f16_e32 v3, v3, v5
	v_add_f16_e32 v9, v9, v5
	v_add_f16_e32 v3, v7, v3
	v_fma_f16 v5, v35, s10, v40
	v_fma_f16 v7, v35, s3, v40
	;; [unrolled: 1-line block ×6, first 2 shown]
	v_sub_f16_e32 v7, v42, v55
	v_sub_f16_e32 v32, v50, v33
	v_add_f16_e32 v7, v7, v32
	v_add_f16_e32 v32, v55, v33
	v_fma_f16 v32, v32, -0.5, v60
	v_sub_f16_e32 v35, v8, v31
	v_fma_f16 v40, v35, s10, v32
	v_sub_f16_e32 v57, v2, v4
	v_fma_f16 v32, v35, s3, v32
	v_fma_f16 v40, v57, s5, v40
	;; [unrolled: 1-line block ×5, first 2 shown]
	v_sub_f16_e32 v32, v55, v42
	v_sub_f16_e32 v64, v33, v50
	v_add_f16_e32 v32, v32, v64
	v_add_f16_e32 v64, v42, v50
	v_fma_f16 v64, v64, -0.5, v60
	v_fma_f16 v65, v57, s3, v64
	v_fma_f16 v57, v57, s10, v64
	v_fma_f16 v64, v35, s5, v65
	v_fma_f16 v35, v35, s2, v57
	v_fma_f16 v57, v32, s4, v64
	v_fma_f16 v32, v32, s4, v35
	v_add_f16_e32 v35, v60, v42
	v_add_f16_e32 v35, v35, v55
	;; [unrolled: 1-line block ×4, first 2 shown]
	v_sub_f16_e32 v42, v42, v50
	v_sub_f16_e32 v33, v55, v33
	;; [unrolled: 1-line block ×4, first 2 shown]
	v_add_f16_e32 v50, v50, v55
	v_add_f16_e32 v55, v2, v4
	v_fma_f16 v55, v55, -0.5, v6
	v_fma_f16 v60, v42, s3, v55
	v_fma_f16 v55, v42, s10, v55
	v_fma_f16 v60, v33, s2, v60
	v_fma_f16 v55, v33, s5, v55
	v_fma_f16 v60, v50, s4, v60
	v_fma_f16 v50, v50, s4, v55
	v_add_f16_e32 v55, v8, v31
	v_fma_f16 v55, v55, -0.5, v6
	v_add_f16_e32 v6, v6, v8
	v_add_f16_e32 v6, v6, v2
	v_sub_f16_e32 v2, v2, v8
	v_add_f16_e32 v6, v6, v4
	v_sub_f16_e32 v4, v4, v31
	v_add_f16_e32 v2, v2, v4
	v_fma_f16 v4, v33, s10, v55
	v_fma_f16 v8, v33, s3, v55
	;; [unrolled: 1-line block ×4, first 2 shown]
	v_add_f16_e32 v6, v6, v31
	v_fma_f16 v4, v2, s4, v4
	v_fma_f16 v2, v2, s4, v8
	v_mul_f16_e32 v8, 0xb8b4, v60
	v_mul_f16_e32 v31, 0x3a79, v60
	v_fma_f16 v8, v40, s13, v8
	v_fma_f16 v31, v40, s2, v31
	v_mul_f16_e32 v33, 0xbb9c, v4
	v_mul_f16_e32 v40, 0xbb9c, v2
	v_mul_f16_e32 v2, 0xb4f2, v2
	v_fma_f16 v33, v57, s4, v33
	v_fma_f16 v40, v32, s12, v40
	;; [unrolled: 1-line block ×3, first 2 shown]
	v_mul_f16_e32 v32, 0xb8b4, v50
	v_mul_f16_e32 v42, 0xba79, v50
	v_fma_f16 v32, v7, s11, v32
	v_fma_f16 v7, v7, s2, v42
	v_add_f16_e32 v42, v27, v35
	v_sub_f16_e32 v27, v27, v35
	v_add_f16_e32 v35, v37, v8
	v_sub_f16_e32 v8, v37, v8
	;; [unrolled: 2-line block ×4, first 2 shown]
	v_lshrrev_b32_e32 v6, 6, v0
	v_mul_u32_u24_e32 v6, 0x280, v6
	v_or_b32_e32 v6, v6, v26
	v_lshl_add_u32 v65, v6, 1, 0
	s_movk_i32 s2, 0x280
	v_lshrrev_b32_e32 v6, 6, v1
	v_mul_lo_u32 v6, v6, s2
	v_mul_f16_e32 v4, 0x34f2, v4
	v_or_b32_e32 v6, v6, v26
	v_fma_f16 v4, v57, s3, v4
	v_add_f16_e32 v50, v34, v40
	v_sub_f16_e32 v34, v34, v40
	v_add_f16_e32 v40, v29, v32
	v_sub_f16_e32 v29, v29, v32
	s_barrier
	ds_write_b16 v65, v48
	ds_write_b16 v65, v51 offset:128
	ds_write_b16 v65, v52 offset:256
	;; [unrolled: 1-line block ×9, first 2 shown]
	v_lshl_add_u32 v39, v6, 1, 0
	v_add_f16_e32 v57, v41, v31
	v_sub_f16_e32 v41, v41, v31
	v_add_f16_e32 v60, v5, v4
	v_sub_f16_e32 v4, v5, v4
	;; [unrolled: 2-line block ×4, first 2 shown]
	ds_write_b16 v39, v42
	ds_write_b16 v39, v35 offset:128
	ds_write_b16 v39, v37 offset:256
	;; [unrolled: 1-line block ×9, first 2 shown]
	s_waitcnt lgkmcnt(0)
	s_barrier
	ds_read_u16 v6, v17
	ds_read_u16 v7, v17 offset:1280
	ds_read_u16 v26, v17 offset:1536
	ds_read_u16 v27, v17 offset:1792
	ds_read_u16 v31, v17 offset:2048
	ds_read_u16 v29, v17 offset:3072
	ds_read_u16 v33, v17 offset:3328
	ds_read_u16 v22, v22
	ds_read_u16 v28, v23
	;; [unrolled: 1-line block ×4, first 2 shown]
	ds_read_u16 v23, v17 offset:2816
	ds_read_u16 v8, v17 offset:2560
	;; [unrolled: 1-line block ×9, first 2 shown]
	s_waitcnt lgkmcnt(0)
	s_barrier
	ds_write_b16 v65, v49
	ds_write_b16 v65, v45 offset:128
	ds_write_b16 v65, v59 offset:256
	;; [unrolled: 1-line block ×9, first 2 shown]
	ds_write_b16 v39, v55
	ds_write_b16 v39, v57 offset:128
	ds_write_b16 v39, v60 offset:256
	;; [unrolled: 1-line block ×9, first 2 shown]
	s_waitcnt lgkmcnt(0)
	s_barrier
	s_and_saveexec_b64 s[2:3], vcc
	s_cbranch_execz .LBB0_15
; %bb.14:
	v_mul_i32_i24_e32 v2, 3, v16
	v_mov_b32_e32 v3, 0
	v_lshl_add_u64 v[4:5], v[2:3], 2, s[8:9]
	v_mul_i32_i24_e32 v2, 3, v15
	global_load_dwordx3 v[38:40], v[4:5], off offset:2544
	v_lshl_add_u64 v[4:5], v[2:3], 2, s[8:9]
	global_load_dwordx3 v[42:44], v[4:5], off offset:2544
	v_mul_i32_i24_e32 v2, 3, v14
	v_mul_lo_u32 v46, s1, v12
	v_mul_lo_u32 v47, s0, v13
	v_mad_u64_u32 v[4:5], s[0:1], s0, v12, 0
	v_lshl_add_u64 v[12:13], v[2:3], 2, s[8:9]
	v_mul_i32_i24_e32 v45, -6, v14
	global_load_dwordx3 v[12:14], v[12:13], off offset:2544
	v_mul_i32_i24_e32 v15, -6, v15
	v_mul_i32_i24_e32 v16, -6, v16
	v_mul_u32_u24_e32 v2, 3, v0
	v_add_u32_e32 v16, v21, v16
	v_add_u32_e32 v15, v20, v15
	v_lshlrev_b32_e32 v2, 2, v2
	ds_read_u16 v49, v17 offset:4864
	ds_read_u16 v53, v17 offset:4608
	ds_read_u16 v54, v17 offset:4352
	ds_read_u16 v55, v17 offset:4096
	ds_read_u16 v56, v17 offset:3840
	ds_read_u16 v57, v17 offset:3584
	ds_read_u16 v58, v17 offset:3328
	ds_read_u16 v59, v17 offset:3072
	v_add3_u32 v5, v5, v47, v46
	ds_read_u16 v16, v16
	ds_read_u16 v15, v15
	global_load_dwordx3 v[46:48], v2, s[8:9] offset:2544
	v_mul_i32_i24_e32 v2, 3, v1
	v_lshl_add_u64 v[20:21], v[2:3], 2, s[8:9]
	global_load_dwordx3 v[50:52], v[20:21], off offset:2544
	ds_read_u16 v2, v17 offset:2816
	ds_read_u16 v20, v17 offset:2560
	;; [unrolled: 1-line block ×4, first 2 shown]
	v_mul_i32_i24_e32 v41, -6, v1
	v_add_u32_e32 v19, v19, v45
	ds_read_u16 v19, v19
	v_add_u32_e32 v18, v18, v41
	ds_read_u16 v18, v18
	s_mov_b32 s0, 0xcccccccd
	v_lshl_add_u64 v[4:5], v[4:5], 2, s[6:7]
	v_lshl_add_u64 v[4:5], v[10:11], 2, v[4:5]
	s_movk_i32 s1, 0x1000
	s_waitcnt vmcnt(4) lgkmcnt(10)
	v_mul_f16_sdwa v1, v39, v57 dst_sel:DWORD dst_unused:UNUSED_PAD src0_sel:WORD_1 src1_sel:DWORD
	v_mul_f16_sdwa v60, v35, v38 dst_sel:DWORD dst_unused:UNUSED_PAD src0_sel:DWORD src1_sel:WORD_1
	v_mul_f16_sdwa v61, v36, v40 dst_sel:DWORD dst_unused:UNUSED_PAD src0_sel:DWORD src1_sel:WORD_1
	;; [unrolled: 1-line block ×3, first 2 shown]
	s_waitcnt lgkmcnt(3)
	v_mul_f16_sdwa v64, v21, v38 dst_sel:DWORD dst_unused:UNUSED_PAD src0_sel:DWORD src1_sel:WORD_1
	v_mul_f16_sdwa v65, v49, v40 dst_sel:DWORD dst_unused:UNUSED_PAD src0_sel:DWORD src1_sel:WORD_1
	v_fma_f16 v1, v37, v39, v1
	v_fma_f16 v21, v38, v21, -v60
	v_fma_f16 v37, v40, v49, -v61
	;; [unrolled: 1-line block ×3, first 2 shown]
	v_fma_f16 v35, v35, v38, v64
	s_waitcnt vmcnt(3)
	v_mul_f16_sdwa v38, v43, v58 dst_sel:DWORD dst_unused:UNUSED_PAD src0_sel:WORD_1 src1_sel:DWORD
	v_mul_f16_sdwa v57, v33, v43 dst_sel:DWORD dst_unused:UNUSED_PAD src0_sel:DWORD src1_sel:WORD_1
	ds_read_u16 v60, v17 offset:1792
	s_waitcnt lgkmcnt(3)
	v_mul_f16_sdwa v61, v63, v42 dst_sel:DWORD dst_unused:UNUSED_PAD src0_sel:DWORD src1_sel:WORD_1
	v_mul_f16_sdwa v62, v53, v44 dst_sel:DWORD dst_unused:UNUSED_PAD src0_sel:DWORD src1_sel:WORD_1
	v_fma_f16 v36, v36, v40, v65
	v_mul_f16_sdwa v40, v31, v42 dst_sel:DWORD dst_unused:UNUSED_PAD src0_sel:DWORD src1_sel:WORD_1
	v_mul_f16_sdwa v49, v34, v44 dst_sel:DWORD dst_unused:UNUSED_PAD src0_sel:DWORD src1_sel:WORD_1
	v_sub_f16_e32 v1, v32, v1
	v_sub_f16_e32 v37, v21, v37
	v_fma_f16 v33, v33, v43, v38
	v_fma_f16 v43, v43, v58, -v57
	v_fma_f16 v31, v31, v42, v61
	v_fma_f16 v34, v34, v44, v62
	v_sub_f16_e32 v39, v16, v39
	v_sub_f16_e32 v36, v35, v36
	v_fma_f16 v38, v42, v63, -v40
	v_fma_f16 v40, v44, v53, -v49
	v_add_f16_e32 v42, v1, v37
	v_fma_f16 v21, v21, 2.0, -v37
	v_sub_f16_e32 v37, v15, v43
	v_sub_f16_e32 v34, v31, v34
	;; [unrolled: 1-line block ×3, first 2 shown]
	v_fma_f16 v35, v35, 2.0, -v36
	v_sub_f16_e32 v33, v30, v33
	v_sub_f16_e32 v36, v38, v40
	;; [unrolled: 1-line block ×3, first 2 shown]
	v_fma_f16 v31, v31, 2.0, -v34
	s_waitcnt vmcnt(2)
	v_mul_f16_sdwa v34, v13, v59 dst_sel:DWORD dst_unused:UNUSED_PAD src0_sel:WORD_1 src1_sel:DWORD
	v_fma_f16 v32, v32, 2.0, -v1
	v_fma_f16 v40, v1, 2.0, -v42
	v_add_f16_e32 v1, v33, v36
	v_fma_f16 v34, v29, v13, v34
	v_mul_f16_sdwa v29, v29, v13 dst_sel:DWORD dst_unused:UNUSED_PAD src0_sel:DWORD src1_sel:WORD_1
	v_fma_f16 v43, v33, 2.0, -v1
	v_fma_f16 v53, v37, 2.0, -v49
	;; [unrolled: 1-line block ×4, first 2 shown]
	ds_read_u16 v37, v17 offset:1536
	v_fma_f16 v33, v38, 2.0, -v36
	v_mul_f16_sdwa v36, v27, v12 dst_sel:DWORD dst_unused:UNUSED_PAD src0_sel:DWORD src1_sel:WORD_1
	v_fma_f16 v13, v13, v59, -v29
	s_waitcnt lgkmcnt(1)
	v_mul_f16_sdwa v29, v60, v12 dst_sel:DWORD dst_unused:UNUSED_PAD src0_sel:DWORD src1_sel:WORD_1
	v_fma_f16 v36, v12, v60, -v36
	v_mul_f16_sdwa v38, v25, v14 dst_sel:DWORD dst_unused:UNUSED_PAD src0_sel:DWORD src1_sel:WORD_1
	v_fma_f16 v12, v27, v12, v29
	v_mul_f16_sdwa v27, v54, v14 dst_sel:DWORD dst_unused:UNUSED_PAD src0_sel:DWORD src1_sel:WORD_1
	v_fma_f16 v38, v14, v54, -v38
	v_fma_f16 v14, v25, v14, v27
	v_sub_f16_e32 v34, v28, v34
	v_sub_f16_e32 v14, v12, v14
	;; [unrolled: 1-line block ×3, first 2 shown]
	v_fma_f16 v28, v28, 2.0, -v34
	v_fma_f16 v12, v12, 2.0, -v14
	v_sub_f16_e32 v25, v13, v14
	v_sub_f16_e32 v12, v28, v12
	;; [unrolled: 1-line block ×3, first 2 shown]
	v_fma_f16 v27, v13, 2.0, -v25
	v_fma_f16 v13, v19, 2.0, -v13
	;; [unrolled: 1-line block ×3, first 2 shown]
	s_waitcnt vmcnt(0)
	v_mul_f16_sdwa v28, v51, v2 dst_sel:DWORD dst_unused:UNUSED_PAD src0_sel:WORD_1 src1_sel:DWORD
	v_add_f16_e32 v45, v34, v38
	v_fma_f16 v28, v23, v51, v28
	v_mul_f16_sdwa v23, v23, v51 dst_sel:DWORD dst_unused:UNUSED_PAD src0_sel:DWORD src1_sel:WORD_1
	v_fma_f16 v57, v34, 2.0, -v45
	ds_read_u16 v34, v17 offset:1280
	v_fma_f16 v2, v51, v2, -v23
	s_waitcnt lgkmcnt(1)
	v_mul_f16_sdwa v23, v37, v50 dst_sel:DWORD dst_unused:UNUSED_PAD src0_sel:DWORD src1_sel:WORD_1
	v_mul_f16_sdwa v29, v26, v50 dst_sel:DWORD dst_unused:UNUSED_PAD src0_sel:DWORD src1_sel:WORD_1
	v_fma_f16 v23, v26, v50, v23
	v_mul_f16_sdwa v26, v55, v52 dst_sel:DWORD dst_unused:UNUSED_PAD src0_sel:DWORD src1_sel:WORD_1
	v_fma_f16 v14, v36, 2.0, -v38
	v_mul_f16_sdwa v36, v24, v52 dst_sel:DWORD dst_unused:UNUSED_PAD src0_sel:DWORD src1_sel:WORD_1
	v_fma_f16 v24, v24, v52, v26
	v_fma_f16 v29, v50, v37, -v29
	v_fma_f16 v36, v52, v55, -v36
	v_sub_f16_e32 v24, v23, v24
	ds_read_u16 v17, v17
	v_sub_f16_e32 v2, v18, v2
	v_sub_f16_e32 v36, v29, v36
	v_sub_f16_e32 v26, v2, v24
	v_fma_f16 v37, v2, 2.0, -v26
	v_fma_f16 v2, v18, 2.0, -v2
	v_fma_f16 v18, v29, 2.0, -v36
	v_sub_f16_e32 v18, v2, v18
	v_sub_f16_e32 v28, v22, v28
	v_fma_f16 v23, v23, 2.0, -v24
	v_fma_f16 v24, v2, 2.0, -v18
	v_mul_f16_sdwa v2, v47, v20 dst_sel:DWORD dst_unused:UNUSED_PAD src0_sel:WORD_1 src1_sel:DWORD
	v_add_f16_e32 v38, v28, v36
	v_fma_f16 v2, v8, v47, v2
	v_mul_f16_sdwa v8, v8, v47 dst_sel:DWORD dst_unused:UNUSED_PAD src0_sel:DWORD src1_sel:WORD_1
	v_fma_f16 v41, v28, 2.0, -v38
	v_fma_f16 v22, v22, 2.0, -v28
	v_mul_f16_sdwa v28, v7, v46 dst_sel:DWORD dst_unused:UNUSED_PAD src0_sel:DWORD src1_sel:WORD_1
	v_mul_f16_sdwa v29, v9, v48 dst_sel:DWORD dst_unused:UNUSED_PAD src0_sel:DWORD src1_sel:WORD_1
	v_fma_f16 v8, v47, v20, -v8
	s_waitcnt lgkmcnt(1)
	v_mul_f16_sdwa v20, v34, v46 dst_sel:DWORD dst_unused:UNUSED_PAD src0_sel:DWORD src1_sel:WORD_1
	v_fma_f16 v28, v46, v34, -v28
	v_fma_f16 v29, v48, v56, -v29
	v_fma_f16 v7, v7, v46, v20
	v_mul_f16_sdwa v20, v56, v48 dst_sel:DWORD dst_unused:UNUSED_PAD src0_sel:DWORD src1_sel:WORD_1
	v_sub_f16_e32 v2, v6, v2
	v_sub_f16_e32 v29, v28, v29
	v_fma_f16 v9, v9, v48, v20
	v_add_f16_e32 v36, v2, v29
	v_sub_f16_e32 v9, v7, v9
	v_fma_f16 v50, v2, 2.0, -v36
	s_waitcnt lgkmcnt(0)
	v_sub_f16_e32 v8, v17, v8
	v_fma_f16 v2, v6, 2.0, -v2
	v_fma_f16 v6, v7, 2.0, -v9
	v_sub_f16_e32 v20, v8, v9
	v_sub_f16_e32 v9, v2, v6
	v_fma_f16 v6, v17, 2.0, -v8
	v_fma_f16 v17, v2, 2.0, -v9
	v_mul_hi_u32 v2, v0, s0
	v_lshrrev_b32_e32 v2, 9, v2
	v_fma_f16 v7, v28, 2.0, -v29
	v_mul_u32_u24_e32 v2, 0x280, v2
	v_fma_f16 v34, v8, 2.0, -v20
	v_sub_f16_e32 v8, v6, v7
	v_sub_u32_e32 v2, v0, v2
	v_fma_f16 v28, v6, 2.0, -v8
	v_lshlrev_b32_e32 v2, 2, v2
	v_lshl_add_u64 v[6:7], v[4:5], 0, v[2:3]
	v_pack_b32_f16 v2, v17, v28
	global_store_dword v[6:7], v2, off
	v_pack_b32_f16 v2, v50, v34
	global_store_dword v[6:7], v2, off offset:2560
	v_add_co_u32_e32 v6, vcc, s1, v6
	v_pack_b32_f16 v2, v9, v8
	s_nop 0
	v_addc_co_u32_e32 v7, vcc, 0, v7, vcc
	global_store_dword v[6:7], v2, off offset:1024
	v_pack_b32_f16 v2, v36, v20
	global_store_dword v[6:7], v2, off offset:3584
	v_add_u32_e32 v2, 0x80, v0
	v_mul_hi_u32 v6, v2, s0
	v_lshrrev_b32_e32 v6, 9, v6
	v_mul_u32_u24_e32 v7, 0x280, v6
	v_sub_f16_e32 v23, v22, v23
	v_sub_u32_e32 v2, v2, v7
	s_movk_i32 s1, 0xa00
	v_fma_f16 v22, v22, 2.0, -v23
	v_mad_u32_u24 v2, v6, s1, v2
	v_lshl_add_u64 v[6:7], v[2:3], 2, v[4:5]
	v_pack_b32_f16 v8, v22, v24
	global_store_dword v[6:7], v8, off
	v_add_u32_e32 v6, 0x280, v2
	v_mov_b32_e32 v7, v3
	v_lshl_add_u64 v[6:7], v[6:7], 2, v[4:5]
	v_pack_b32_f16 v8, v41, v37
	global_store_dword v[6:7], v8, off
	v_add_u32_e32 v6, 0x500, v2
	v_mov_b32_e32 v7, v3
	v_lshl_add_u64 v[6:7], v[6:7], 2, v[4:5]
	v_pack_b32_f16 v8, v23, v18
	v_add_u32_e32 v2, 0x780, v2
	global_store_dword v[6:7], v8, off
	v_lshl_add_u64 v[6:7], v[2:3], 2, v[4:5]
	v_pack_b32_f16 v2, v38, v26
	global_store_dword v[6:7], v2, off
	v_add_u32_e32 v2, 0x100, v0
	v_mul_hi_u32 v6, v2, s0
	v_lshrrev_b32_e32 v6, 9, v6
	v_mul_u32_u24_e32 v7, 0x280, v6
	v_sub_f16_e32 v14, v13, v14
	v_sub_u32_e32 v2, v2, v7
	v_fma_f16 v13, v13, 2.0, -v14
	v_mad_u32_u24 v2, v6, s1, v2
	v_lshl_add_u64 v[6:7], v[2:3], 2, v[4:5]
	v_pack_b32_f16 v8, v19, v13
	global_store_dword v[6:7], v8, off
	v_add_u32_e32 v6, 0x280, v2
	v_mov_b32_e32 v7, v3
	v_lshl_add_u64 v[6:7], v[6:7], 2, v[4:5]
	v_pack_b32_f16 v8, v57, v27
	global_store_dword v[6:7], v8, off
	v_add_u32_e32 v6, 0x500, v2
	v_mov_b32_e32 v7, v3
	v_lshl_add_u64 v[6:7], v[6:7], 2, v[4:5]
	v_pack_b32_f16 v8, v12, v14
	v_add_u32_e32 v2, 0x780, v2
	global_store_dword v[6:7], v8, off
	v_lshl_add_u64 v[6:7], v[2:3], 2, v[4:5]
	v_pack_b32_f16 v2, v45, v25
	global_store_dword v[6:7], v2, off
	v_add_u32_e32 v2, 0x180, v0
	v_mul_hi_u32 v6, v2, s0
	v_lshrrev_b32_e32 v6, 9, v6
	v_mul_u32_u24_e32 v7, 0x280, v6
	v_sub_f16_e32 v31, v30, v31
	v_sub_f16_e32 v33, v15, v33
	v_sub_u32_e32 v2, v2, v7
	v_fma_f16 v30, v30, 2.0, -v31
	v_fma_f16 v15, v15, 2.0, -v33
	v_mad_u32_u24 v2, v6, s1, v2
	v_lshl_add_u64 v[6:7], v[2:3], 2, v[4:5]
	v_pack_b32_f16 v8, v30, v15
	global_store_dword v[6:7], v8, off
	v_add_u32_e32 v6, 0x280, v2
	v_mov_b32_e32 v7, v3
	v_lshl_add_u64 v[6:7], v[6:7], 2, v[4:5]
	v_pack_b32_f16 v8, v43, v53
	global_store_dword v[6:7], v8, off
	v_add_u32_e32 v6, 0x500, v2
	v_mov_b32_e32 v7, v3
	v_lshl_add_u64 v[6:7], v[6:7], 2, v[4:5]
	v_pack_b32_f16 v8, v31, v33
	v_add_u32_e32 v2, 0x780, v2
	global_store_dword v[6:7], v8, off
	v_lshl_add_u64 v[6:7], v[2:3], 2, v[4:5]
	v_pack_b32_f16 v1, v1, v49
	v_add_u32_e32 v0, 0x200, v0
	global_store_dword v[6:7], v1, off
	v_mul_hi_u32 v1, v0, s0
	v_lshrrev_b32_e32 v1, 9, v1
	v_fma_f16 v16, v16, 2.0, -v39
	v_mul_u32_u24_e32 v2, 0x280, v1
	v_sub_f16_e32 v35, v32, v35
	v_sub_f16_e32 v21, v16, v21
	v_sub_u32_e32 v0, v0, v2
	v_fma_f16 v32, v32, 2.0, -v35
	v_fma_f16 v16, v16, 2.0, -v21
	v_mad_u32_u24 v2, v1, s1, v0
	v_lshl_add_u64 v[0:1], v[2:3], 2, v[4:5]
	v_pack_b32_f16 v6, v32, v16
	v_fma_f16 v39, v39, 2.0, -v44
	global_store_dword v[0:1], v6, off
	v_add_u32_e32 v0, 0x280, v2
	v_mov_b32_e32 v1, v3
	v_lshl_add_u64 v[0:1], v[0:1], 2, v[4:5]
	v_pack_b32_f16 v6, v40, v39
	global_store_dword v[0:1], v6, off
	v_add_u32_e32 v0, 0x500, v2
	v_mov_b32_e32 v1, v3
	v_lshl_add_u64 v[0:1], v[0:1], 2, v[4:5]
	v_pack_b32_f16 v6, v35, v21
	v_add_u32_e32 v2, 0x780, v2
	global_store_dword v[0:1], v6, off
	v_lshl_add_u64 v[0:1], v[2:3], 2, v[4:5]
	v_pack_b32_f16 v2, v42, v44
	global_store_dword v[0:1], v2, off
.LBB0_15:
	s_endpgm
	.section	.rodata,"a",@progbits
	.p2align	6, 0x0
	.amdhsa_kernel fft_rtc_back_len2560_factors_4_4_4_10_4_wgs_128_tpt_128_halfLds_half_op_CI_CI_unitstride_sbrr_dirReg
		.amdhsa_group_segment_fixed_size 0
		.amdhsa_private_segment_fixed_size 0
		.amdhsa_kernarg_size 104
		.amdhsa_user_sgpr_count 2
		.amdhsa_user_sgpr_dispatch_ptr 0
		.amdhsa_user_sgpr_queue_ptr 0
		.amdhsa_user_sgpr_kernarg_segment_ptr 1
		.amdhsa_user_sgpr_dispatch_id 0
		.amdhsa_user_sgpr_kernarg_preload_length 0
		.amdhsa_user_sgpr_kernarg_preload_offset 0
		.amdhsa_user_sgpr_private_segment_size 0
		.amdhsa_uses_dynamic_stack 0
		.amdhsa_enable_private_segment 0
		.amdhsa_system_sgpr_workgroup_id_x 1
		.amdhsa_system_sgpr_workgroup_id_y 0
		.amdhsa_system_sgpr_workgroup_id_z 0
		.amdhsa_system_sgpr_workgroup_info 0
		.amdhsa_system_vgpr_workitem_id 0
		.amdhsa_next_free_vgpr 72
		.amdhsa_next_free_sgpr 28
		.amdhsa_accum_offset 72
		.amdhsa_reserve_vcc 1
		.amdhsa_float_round_mode_32 0
		.amdhsa_float_round_mode_16_64 0
		.amdhsa_float_denorm_mode_32 3
		.amdhsa_float_denorm_mode_16_64 3
		.amdhsa_dx10_clamp 1
		.amdhsa_ieee_mode 1
		.amdhsa_fp16_overflow 0
		.amdhsa_tg_split 0
		.amdhsa_exception_fp_ieee_invalid_op 0
		.amdhsa_exception_fp_denorm_src 0
		.amdhsa_exception_fp_ieee_div_zero 0
		.amdhsa_exception_fp_ieee_overflow 0
		.amdhsa_exception_fp_ieee_underflow 0
		.amdhsa_exception_fp_ieee_inexact 0
		.amdhsa_exception_int_div_zero 0
	.end_amdhsa_kernel
	.text
.Lfunc_end0:
	.size	fft_rtc_back_len2560_factors_4_4_4_10_4_wgs_128_tpt_128_halfLds_half_op_CI_CI_unitstride_sbrr_dirReg, .Lfunc_end0-fft_rtc_back_len2560_factors_4_4_4_10_4_wgs_128_tpt_128_halfLds_half_op_CI_CI_unitstride_sbrr_dirReg
                                        ; -- End function
	.section	.AMDGPU.csdata,"",@progbits
; Kernel info:
; codeLenInByte = 11780
; NumSgprs: 34
; NumVgprs: 72
; NumAgprs: 0
; TotalNumVgprs: 72
; ScratchSize: 0
; MemoryBound: 0
; FloatMode: 240
; IeeeMode: 1
; LDSByteSize: 0 bytes/workgroup (compile time only)
; SGPRBlocks: 4
; VGPRBlocks: 8
; NumSGPRsForWavesPerEU: 34
; NumVGPRsForWavesPerEU: 72
; AccumOffset: 72
; Occupancy: 7
; WaveLimiterHint : 1
; COMPUTE_PGM_RSRC2:SCRATCH_EN: 0
; COMPUTE_PGM_RSRC2:USER_SGPR: 2
; COMPUTE_PGM_RSRC2:TRAP_HANDLER: 0
; COMPUTE_PGM_RSRC2:TGID_X_EN: 1
; COMPUTE_PGM_RSRC2:TGID_Y_EN: 0
; COMPUTE_PGM_RSRC2:TGID_Z_EN: 0
; COMPUTE_PGM_RSRC2:TIDIG_COMP_CNT: 0
; COMPUTE_PGM_RSRC3_GFX90A:ACCUM_OFFSET: 17
; COMPUTE_PGM_RSRC3_GFX90A:TG_SPLIT: 0
	.text
	.p2alignl 6, 3212836864
	.fill 256, 4, 3212836864
	.type	__hip_cuid_9692c0948ce31f7b,@object ; @__hip_cuid_9692c0948ce31f7b
	.section	.bss,"aw",@nobits
	.globl	__hip_cuid_9692c0948ce31f7b
__hip_cuid_9692c0948ce31f7b:
	.byte	0                               ; 0x0
	.size	__hip_cuid_9692c0948ce31f7b, 1

	.ident	"AMD clang version 19.0.0git (https://github.com/RadeonOpenCompute/llvm-project roc-6.4.0 25133 c7fe45cf4b819c5991fe208aaa96edf142730f1d)"
	.section	".note.GNU-stack","",@progbits
	.addrsig
	.addrsig_sym __hip_cuid_9692c0948ce31f7b
	.amdgpu_metadata
---
amdhsa.kernels:
  - .agpr_count:     0
    .args:
      - .actual_access:  read_only
        .address_space:  global
        .offset:         0
        .size:           8
        .value_kind:     global_buffer
      - .offset:         8
        .size:           8
        .value_kind:     by_value
      - .actual_access:  read_only
        .address_space:  global
        .offset:         16
        .size:           8
        .value_kind:     global_buffer
      - .actual_access:  read_only
        .address_space:  global
        .offset:         24
        .size:           8
        .value_kind:     global_buffer
      - .actual_access:  read_only
        .address_space:  global
        .offset:         32
        .size:           8
        .value_kind:     global_buffer
      - .offset:         40
        .size:           8
        .value_kind:     by_value
      - .actual_access:  read_only
        .address_space:  global
        .offset:         48
        .size:           8
        .value_kind:     global_buffer
      - .actual_access:  read_only
        .address_space:  global
        .offset:         56
        .size:           8
        .value_kind:     global_buffer
      - .offset:         64
        .size:           4
        .value_kind:     by_value
      - .actual_access:  read_only
        .address_space:  global
        .offset:         72
        .size:           8
        .value_kind:     global_buffer
      - .actual_access:  read_only
        .address_space:  global
        .offset:         80
        .size:           8
        .value_kind:     global_buffer
      - .actual_access:  read_only
        .address_space:  global
        .offset:         88
        .size:           8
        .value_kind:     global_buffer
      - .actual_access:  write_only
        .address_space:  global
        .offset:         96
        .size:           8
        .value_kind:     global_buffer
    .group_segment_fixed_size: 0
    .kernarg_segment_align: 8
    .kernarg_segment_size: 104
    .language:       OpenCL C
    .language_version:
      - 2
      - 0
    .max_flat_workgroup_size: 128
    .name:           fft_rtc_back_len2560_factors_4_4_4_10_4_wgs_128_tpt_128_halfLds_half_op_CI_CI_unitstride_sbrr_dirReg
    .private_segment_fixed_size: 0
    .sgpr_count:     34
    .sgpr_spill_count: 0
    .symbol:         fft_rtc_back_len2560_factors_4_4_4_10_4_wgs_128_tpt_128_halfLds_half_op_CI_CI_unitstride_sbrr_dirReg.kd
    .uniform_work_group_size: 1
    .uses_dynamic_stack: false
    .vgpr_count:     72
    .vgpr_spill_count: 0
    .wavefront_size: 64
amdhsa.target:   amdgcn-amd-amdhsa--gfx950
amdhsa.version:
  - 1
  - 2
...

	.end_amdgpu_metadata
